;; amdgpu-corpus repo=zjin-lcf/HeCBench kind=compiled arch=gfx1030 opt=O3
	.amdgcn_target "amdgcn-amd-amdhsa--gfx1030"
	.amdhsa_code_object_version 6
	.text
	.protected	_Z11cool_kernelidPKdPdi ; -- Begin function _Z11cool_kernelidPKdPdi
	.globl	_Z11cool_kernelidPKdPdi
	.p2align	8
	.type	_Z11cool_kernelidPKdPdi,@function
_Z11cool_kernelidPKdPdi:                ; @_Z11cool_kernelidPKdPdi
; %bb.0:
	s_clause 0x1
	s_load_dword s0, s[4:5], 0x34
	s_load_dword s1, s[4:5], 0x0
	s_waitcnt lgkmcnt(0)
	s_and_b32 s0, s0, 0xffff
	v_mad_u64_u32 v[0:1], null, s6, s0, v[0:1]
	s_mov_b32 s0, exec_lo
	v_cmpx_gt_i32_e64 s1, v0
	s_cbranch_execz .LBB0_11
; %bb.1:
	s_clause 0x1
	s_load_dwordx4 s[20:23], s[4:5], 0x8
	s_load_dword s33, s[4:5], 0x20
	v_ashrrev_i32_e32 v1, 31, v0
	s_mov_b32 s6, 0x55555555
	s_mov_b32 s7, 0x3fe55555
	;; [unrolled: 1-line block ×4, first 2 shown]
	v_lshlrev_b64 v[0:1], 3, v[0:1]
	s_mov_b32 s3, 0x3fba6564
	s_mov_b32 s37, 0x3fbdee67
	;; [unrolled: 1-line block ×12, first 2 shown]
	s_waitcnt lgkmcnt(0)
	v_add_co_u32 v2, vcc_lo, s22, v0
	v_add_co_ci_u32_e64 v3, null, s23, v1, vcc_lo
	s_mov_b32 s46, 0x924920da
	s_mov_b32 s47, 0x3fd24924
	;; [unrolled: 1-line block ×3, first 2 shown]
	global_load_dwordx2 v[4:5], v[2:3], off
	s_mov_b32 s49, 0x3fd99999
	s_mov_b32 s13, 0xbfe55555
	;; [unrolled: 1-line block ×33, first 2 shown]
	s_waitcnt vmcnt(0)
	v_cmp_gt_f64_e32 vcc_lo, 0x10000000, v[4:5]
	v_frexp_exp_i32_f64_e32 v68, v[4:5]
	v_cndmask_b32_e64 v2, 0, 0x100, vcc_lo
	v_ldexp_f64 v[2:3], v[4:5], v2
	v_rsq_f64_e32 v[6:7], v[2:3]
	v_mul_f64 v[8:9], v[2:3], v[6:7]
	v_mul_f64 v[6:7], v[6:7], 0.5
	v_fma_f64 v[10:11], -v[6:7], v[8:9], 0.5
	v_fma_f64 v[8:9], v[8:9], v[10:11], v[8:9]
	v_fma_f64 v[6:7], v[6:7], v[10:11], v[6:7]
	v_fma_f64 v[10:11], -v[8:9], v[8:9], v[2:3]
	v_fma_f64 v[8:9], v[10:11], v[6:7], v[8:9]
	v_fma_f64 v[10:11], -v[8:9], v[8:9], v[2:3]
	v_fma_f64 v[6:7], v[10:11], v[6:7], v[8:9]
	v_cndmask_b32_e64 v8, 0, 0xffffff80, vcc_lo
	v_cmp_class_f64_e64 vcc_lo, v[2:3], 0x260
	v_div_scale_f64 v[10:11], null, 0x412e8480, 0x412e8480, v[4:5]
	v_ldexp_f64 v[6:7], v[6:7], v8
	v_div_scale_f64 v[8:9], null, 0x408f4000, 0x408f4000, v[4:5]
	v_rcp_f64_e32 v[16:17], v[10:11]
	v_cndmask_b32_e32 v3, v7, v3, vcc_lo
	v_cndmask_b32_e32 v2, v6, v2, vcc_lo
	v_rcp_f64_e32 v[14:15], v[8:9]
	v_fma_f64 v[22:23], -v[10:11], v[16:17], 1.0
	v_div_scale_f64 v[6:7], null, v[2:3], v[2:3], 1.0
	v_div_scale_f64 v[24:25], vcc_lo, 1.0, v[2:3], 1.0
	v_fma_f64 v[20:21], -v[8:9], v[14:15], 1.0
	v_fma_f64 v[16:17], v[16:17], v[22:23], v[16:17]
	v_rcp_f64_e32 v[12:13], v[6:7]
	v_fma_f64 v[14:15], v[14:15], v[20:21], v[14:15]
	v_fma_f64 v[22:23], -v[10:11], v[16:17], 1.0
	v_fma_f64 v[18:19], -v[6:7], v[12:13], 1.0
	;; [unrolled: 1-line block ×3, first 2 shown]
	v_fma_f64 v[16:17], v[16:17], v[22:23], v[16:17]
	v_fma_f64 v[12:13], v[12:13], v[18:19], v[12:13]
	v_fma_f64 v[14:15], v[14:15], v[20:21], v[14:15]
	v_div_scale_f64 v[20:21], s1, v[4:5], 0x412e8480, v[4:5]
	v_fma_f64 v[18:19], -v[6:7], v[12:13], 1.0
	v_mul_f64 v[28:29], v[20:21], v[16:17]
	v_fma_f64 v[12:13], v[12:13], v[18:19], v[12:13]
	v_div_scale_f64 v[18:19], s0, v[4:5], 0x408f4000, v[4:5]
	v_fma_f64 v[20:21], -v[10:11], v[28:29], v[20:21]
	v_mul_f64 v[22:23], v[24:25], v[12:13]
	v_mul_f64 v[26:27], v[18:19], v[14:15]
	v_fma_f64 v[6:7], -v[6:7], v[22:23], v[24:25]
	v_fma_f64 v[18:19], -v[8:9], v[26:27], v[18:19]
	v_div_fmas_f64 v[8:9], v[6:7], v[12:13], v[22:23]
	s_mov_b32 vcc_lo, s0
	v_div_fmas_f64 v[10:11], v[18:19], v[14:15], v[26:27]
	s_mov_b32 vcc_lo, s1
	v_div_fmas_f64 v[6:7], v[20:21], v[16:17], v[28:29]
	v_div_fixup_f64 v[10:11], v[10:11], 0x408f4000, v[4:5]
	v_div_fixup_f64 v[6:7], v[6:7], 0x412e8480, v[4:5]
	v_frexp_mant_f64_e64 v[38:39], |v[10:11]|
	v_frexp_mant_f64_e64 v[12:13], |v[6:7]|
	v_cmp_eq_f64_e64 s1, 1.0, v[6:7]
	v_cmp_gt_f64_e64 s0, s[6:7], v[12:13]
	v_cndmask_b32_e64 v14, 0, 1, s0
	v_ldexp_f64 v[12:13], v[12:13], v14
	v_add_f64 v[14:15], v[12:13], 1.0
	v_add_f64 v[20:21], v[12:13], -1.0
	v_rcp_f64_e32 v[16:17], v[14:15]
	v_add_f64 v[22:23], v[14:15], -1.0
	v_add_f64 v[12:13], v[12:13], -v[22:23]
	v_fma_f64 v[18:19], -v[14:15], v[16:17], 1.0
	v_fma_f64 v[16:17], v[18:19], v[16:17], v[16:17]
	v_fma_f64 v[18:19], -v[14:15], v[16:17], 1.0
	v_fma_f64 v[16:17], v[18:19], v[16:17], v[16:17]
	v_mul_f64 v[18:19], v[20:21], v[16:17]
	v_mul_f64 v[24:25], v[14:15], v[18:19]
	v_fma_f64 v[14:15], v[18:19], v[14:15], -v[24:25]
	v_fma_f64 v[12:13], v[18:19], v[12:13], v[14:15]
	v_add_f64 v[14:15], v[24:25], v[12:13]
	v_add_f64 v[22:23], v[20:21], -v[14:15]
	v_add_f64 v[24:25], v[14:15], -v[24:25]
	;; [unrolled: 1-line block ×5, first 2 shown]
	v_add_f64 v[12:13], v[12:13], v[14:15]
	v_add_f64 v[12:13], v[22:23], v[12:13]
	v_mul_f64 v[12:13], v[16:17], v[12:13]
	v_add_f64 v[14:15], v[18:19], v[12:13]
	v_add_f64 v[16:17], v[14:15], -v[18:19]
	v_mul_f64 v[18:19], v[14:15], v[14:15]
	v_add_f64 v[12:13], v[12:13], -v[16:17]
	v_fma_f64 v[16:17], v[14:15], v[14:15], -v[18:19]
	v_add_f64 v[20:21], v[12:13], v[12:13]
	v_fma_f64 v[16:17], v[14:15], v[20:21], v[16:17]
	v_add_f64 v[20:21], v[18:19], v[16:17]
	v_fma_f64 v[22:23], v[20:21], s[36:37], s[2:3]
	v_add_f64 v[18:19], v[20:21], -v[18:19]
	v_mul_f64 v[28:29], v[14:15], v[20:21]
	v_fma_f64 v[22:23], v[20:21], v[22:23], s[52:53]
	v_add_f64 v[16:17], v[16:17], -v[18:19]
	v_fma_f64 v[22:23], v[20:21], v[22:23], s[54:55]
	v_fma_f64 v[22:23], v[20:21], v[22:23], s[58:59]
	;; [unrolled: 1-line block ×6, first 2 shown]
	v_mul_f64 v[24:25], v[20:21], v[22:23]
	v_fma_f64 v[18:19], v[20:21], v[22:23], -v[24:25]
	v_fma_f64 v[18:19], v[16:17], v[22:23], v[18:19]
	v_add_f64 v[22:23], v[24:25], v[18:19]
	v_add_f64 v[26:27], v[22:23], s[6:7]
	v_add_f64 v[24:25], v[22:23], -v[24:25]
	v_add_f64 v[30:31], v[26:27], s[12:13]
	v_add_f64 v[18:19], v[18:19], -v[24:25]
	v_fma_f64 v[24:25], v[20:21], v[14:15], -v[28:29]
	v_add_f64 v[22:23], v[22:23], -v[30:31]
	v_add_f64 v[18:19], v[18:19], s[8:9]
	v_fma_f64 v[20:21], v[20:21], v[12:13], v[24:25]
	v_ldexp_f64 v[12:13], v[12:13], 1
	v_add_f64 v[22:23], v[18:19], v[22:23]
	v_fma_f64 v[20:21], v[16:17], v[14:15], v[20:21]
	v_ldexp_f64 v[14:15], v[14:15], 1
	v_add_f64 v[18:19], v[26:27], v[22:23]
	v_add_f64 v[24:25], v[28:29], v[20:21]
	v_add_f64 v[26:27], v[26:27], -v[18:19]
	v_mul_f64 v[16:17], v[24:25], v[18:19]
	v_add_f64 v[28:29], v[24:25], -v[28:29]
	v_add_f64 v[22:23], v[22:23], v[26:27]
	v_fma_f64 v[26:27], v[24:25], v[18:19], -v[16:17]
	v_add_f64 v[20:21], v[20:21], -v[28:29]
	v_fma_f64 v[22:23], v[24:25], v[22:23], v[26:27]
	v_frexp_mant_f64_e64 v[24:25], |v[4:5]|
	v_frexp_exp_i32_f64_e32 v26, v[6:7]
	v_fma_f64 v[18:19], v[20:21], v[18:19], v[22:23]
	v_cmp_gt_f64_e32 vcc_lo, s[6:7], v[24:25]
	v_subrev_co_ci_u32_e64 v26, null, 0, v26, s0
	v_cmp_gt_f64_e64 s0, s[6:7], v[38:39]
	v_cvt_f64_i32_e32 v[26:27], v26
	v_add_f64 v[22:23], v[16:17], v[18:19]
	v_cndmask_b32_e64 v20, 0, 1, vcc_lo
	v_subrev_co_ci_u32_e64 v67, null, 0, v68, vcc_lo
	v_cndmask_b32_e64 v46, 0, 1, s0
	v_ldexp_f64 v[20:21], v[24:25], v20
	v_mul_f64 v[32:33], v[26:27], s[16:17]
	v_cvt_f64_i32_e32 v[69:70], v67
	v_ldexp_f64 v[38:39], v[38:39], v46
	v_mov_b32_e32 v46, 0x3ff00000
	v_add_f64 v[28:29], v[14:15], v[22:23]
	v_add_f64 v[16:17], v[22:23], -v[16:17]
	v_add_f64 v[24:25], v[20:21], 1.0
	v_fma_f64 v[34:35], v[26:27], s[16:17], -v[32:33]
	v_add_f64 v[14:15], v[28:29], -v[14:15]
	v_add_f64 v[16:17], v[18:19], -v[16:17]
	v_rcp_f64_e32 v[30:31], v[24:25]
	v_add_f64 v[40:41], v[24:25], -1.0
	v_add_f64 v[14:15], v[22:23], -v[14:15]
	v_add_f64 v[12:13], v[12:13], v[16:17]
	v_fma_f64 v[18:19], -v[24:25], v[30:31], 1.0
	v_add_f64 v[12:13], v[12:13], v[14:15]
	v_fma_f64 v[16:17], v[18:19], v[30:31], v[30:31]
	v_fma_f64 v[18:19], v[26:27], s[44:45], v[34:35]
	v_add_f64 v[30:31], v[20:21], -1.0
	v_add_f64 v[20:21], v[20:21], -v[40:41]
	v_add_f64 v[26:27], v[28:29], v[12:13]
	v_fma_f64 v[14:15], -v[24:25], v[16:17], 1.0
	v_add_f64 v[22:23], v[32:33], v[18:19]
	v_add_f64 v[28:29], v[26:27], -v[28:29]
	v_fma_f64 v[14:15], v[14:15], v[16:17], v[16:17]
	v_add_f64 v[16:17], v[22:23], v[26:27]
	v_add_f64 v[32:33], v[22:23], -v[32:33]
	v_add_f64 v[12:13], v[12:13], -v[28:29]
	v_add_f64 v[28:29], v[38:39], 1.0
	v_mul_f64 v[34:35], v[30:31], v[14:15]
	v_add_f64 v[36:37], v[16:17], -v[22:23]
	v_add_f64 v[18:19], v[18:19], -v[32:33]
	v_mul_f64 v[42:43], v[24:25], v[34:35]
	v_add_f64 v[44:45], v[16:17], -v[36:37]
	v_add_f64 v[26:27], v[26:27], -v[36:37]
	v_fma_f64 v[24:25], v[34:35], v[24:25], -v[42:43]
	v_add_f64 v[22:23], v[22:23], -v[44:45]
	v_fma_f64 v[20:21], v[34:35], v[20:21], v[24:25]
	v_add_f64 v[24:25], v[18:19], v[12:13]
	v_add_f64 v[22:23], v[26:27], v[22:23]
	v_rcp_f64_e32 v[26:27], v[28:29]
	v_add_f64 v[32:33], v[42:43], v[20:21]
	v_add_f64 v[36:37], v[24:25], -v[18:19]
	v_add_f64 v[22:23], v[24:25], v[22:23]
	v_fma_f64 v[40:41], -v[28:29], v[26:27], 1.0
	v_add_f64 v[44:45], v[30:31], -v[32:33]
	v_add_f64 v[24:25], v[24:25], -v[36:37]
	v_add_f64 v[47:48], v[16:17], v[22:23]
	v_add_f64 v[12:13], v[12:13], -v[36:37]
	v_fma_f64 v[26:27], v[40:41], v[26:27], v[26:27]
	v_add_f64 v[40:41], v[32:33], -v[42:43]
	v_add_f64 v[30:31], v[30:31], -v[44:45]
	;; [unrolled: 1-line block ×4, first 2 shown]
	v_fma_f64 v[24:25], -v[28:29], v[26:27], 1.0
	v_add_f64 v[20:21], v[40:41], -v[20:21]
	v_cndmask_b32_e64 v41, 0x3fe66666, v46, s1
	v_cndmask_b32_e64 v40, 0x66666666, 0, s1
	v_add_f64 v[30:31], v[30:31], -v[32:33]
	v_add_f64 v[12:13], v[12:13], v[18:19]
	v_add_f64 v[16:17], v[22:23], -v[16:17]
	v_add_f64 v[22:23], v[38:39], -1.0
	v_fma_f64 v[24:25], v[24:25], v[26:27], v[26:27]
	v_add_f64 v[18:19], v[20:21], v[30:31]
	v_add_f64 v[20:21], v[28:29], -1.0
	v_add_f64 v[12:13], v[12:13], v[16:17]
	v_mul_f64 v[16:17], v[22:23], v[24:25]
	v_add_f64 v[18:19], v[44:45], v[18:19]
	v_add_f64 v[36:37], v[38:39], -v[20:21]
	v_add_f64 v[26:27], v[47:48], v[12:13]
	v_mul_f64 v[30:31], v[28:29], v[16:17]
	v_mul_f64 v[14:15], v[14:15], v[18:19]
	v_add_f64 v[18:19], v[26:27], -v[47:48]
	v_mul_f64 v[32:33], v[40:41], v[26:27]
	v_fma_f64 v[28:29], v[16:17], v[28:29], -v[30:31]
	v_add_f64 v[20:21], v[34:35], v[14:15]
	v_add_f64 v[12:13], v[12:13], -v[18:19]
	v_fma_f64 v[18:19], v[40:41], v[26:27], -v[32:33]
	v_cmp_class_f64_e64 s1, v[32:33], 0x204
	v_fma_f64 v[26:27], v[16:17], v[36:37], v[28:29]
	v_add_f64 v[28:29], v[20:21], -v[34:35]
	v_mul_f64 v[38:39], v[20:21], v[20:21]
	v_fma_f64 v[34:35], v[40:41], v[12:13], v[18:19]
	v_add_f64 v[12:13], v[30:31], v[26:27]
	v_add_f64 v[18:19], v[14:15], -v[28:29]
	v_fma_f64 v[36:37], v[20:21], v[20:21], -v[38:39]
	v_add_f64 v[28:29], v[32:33], v[34:35]
	v_add_f64 v[14:15], v[22:23], -v[12:13]
	v_add_f64 v[30:31], v[12:13], -v[30:31]
	v_add_f64 v[42:43], v[18:19], v[18:19]
	v_cndmask_b32_e64 v45, v29, v33, s1
	v_cndmask_b32_e64 v44, v28, v32, s1
	v_add_f64 v[22:23], v[22:23], -v[14:15]
	v_add_f64 v[26:27], v[30:31], -v[26:27]
	;; [unrolled: 1-line block ×3, first 2 shown]
	v_mul_f64 v[47:48], v[44:45], s[10:11]
	v_cmp_neq_f64_e64 s1, 0x7ff00000, |v[44:45]|
	v_fma_f64 v[42:43], v[20:21], v[42:43], v[36:37]
	v_add_f64 v[12:13], v[22:23], -v[12:13]
	v_add_f64 v[28:29], v[34:35], -v[28:29]
	v_rndne_f64_e32 v[47:48], v[47:48]
	v_add_f64 v[30:31], v[38:39], v[42:43]
	v_add_f64 v[12:13], v[26:27], v[12:13]
	v_cndmask_b32_e64 v29, 0, v29, s1
	v_cndmask_b32_e64 v28, 0, v28, s1
	v_fma_f64 v[22:23], v[47:48], s[14:15], v[44:45]
	v_cvt_i32_f64_e32 v57, v[47:48]
	v_fma_f64 v[26:27], v[30:31], s[36:37], s[2:3]
	v_add_f64 v[12:13], v[14:15], v[12:13]
	v_fma_f64 v[49:50], v[47:48], s[40:41], v[22:23]
	v_fma_f64 v[14:15], v[30:31], v[26:27], s[52:53]
	v_mul_f64 v[12:13], v[24:25], v[12:13]
	v_fma_f64 v[22:23], v[49:50], s[22:23], s[18:19]
	v_fma_f64 v[24:25], v[30:31], v[14:15], s[54:55]
	v_add_f64 v[14:15], v[16:17], v[12:13]
	v_fma_f64 v[22:23], v[49:50], v[22:23], s[24:25]
	v_fma_f64 v[24:25], v[30:31], v[24:25], s[58:59]
	v_add_f64 v[16:17], v[14:15], -v[16:17]
	v_mul_f64 v[51:52], v[14:15], v[14:15]
	v_fma_f64 v[22:23], v[49:50], v[22:23], s[26:27]
	v_fma_f64 v[24:25], v[30:31], v[24:25], s[56:57]
	v_add_f64 v[12:13], v[12:13], -v[16:17]
	v_fma_f64 v[22:23], v[49:50], v[22:23], s[28:29]
	v_fma_f64 v[16:17], v[30:31], v[24:25], s[50:51]
	v_fma_f64 v[24:25], v[14:15], v[14:15], -v[51:52]
	v_add_f64 v[26:27], v[12:13], v[12:13]
	v_fma_f64 v[22:23], v[49:50], v[22:23], s[30:31]
	v_fma_f64 v[16:17], v[30:31], v[16:17], s[46:47]
	;; [unrolled: 1-line block ×3, first 2 shown]
	v_add_f64 v[26:27], v[30:31], -v[38:39]
	v_fma_f64 v[22:23], v[49:50], v[22:23], s[34:35]
	v_fma_f64 v[16:17], v[30:31], v[16:17], s[48:49]
	v_add_f64 v[26:27], v[42:43], -v[26:27]
	v_fma_f64 v[24:25], v[49:50], v[22:23], s[38:39]
	v_add_f64 v[22:23], v[51:52], v[36:37]
	v_mul_f64 v[53:54], v[30:31], v[16:17]
	v_fma_f64 v[24:25], v[49:50], v[24:25], s[42:43]
	v_fma_f64 v[38:39], v[22:23], s[36:37], s[2:3]
	s_mov_b32 s36, 11
	s_mov_b32 s37, 0x3fe00000
	v_cmp_nlt_f64_e64 s2, 0x40900000, v[44:45]
	v_cmp_ngt_f64_e64 s3, 0xc090cc00, v[44:45]
	v_mul_f64 v[44:45], v[40:41], 0.5
	v_fma_f64 v[42:43], v[30:31], v[16:17], -v[53:54]
	v_fma_f64 v[24:25], v[49:50], v[24:25], s[36:37]
	v_fma_f64 v[38:39], v[22:23], v[38:39], s[52:53]
	s_and_b32 s1, s3, s2
	v_fma_f64 v[42:43], v[26:27], v[16:17], v[42:43]
	v_fma_f64 v[16:17], v[49:50], v[24:25], 1.0
	v_fma_f64 v[24:25], v[22:23], v[38:39], s[54:55]
	v_add_f64 v[55:56], v[53:54], v[42:43]
	v_fma_f64 v[47:48], v[49:50], v[16:17], 1.0
	v_fma_f64 v[24:25], v[22:23], v[24:25], s[58:59]
	v_mul_f64 v[16:17], v[20:21], v[30:31]
	v_add_f64 v[38:39], v[55:56], s[6:7]
	v_add_f64 v[49:50], v[55:56], -v[53:54]
	v_ldexp_f64 v[32:33], v[47:48], v57
	v_fma_f64 v[24:25], v[22:23], v[24:25], s[56:57]
	v_fma_f64 v[47:48], v[30:31], v[20:21], -v[16:17]
	v_add_f64 v[53:54], v[38:39], s[12:13]
	v_add_f64 v[42:43], v[42:43], -v[49:50]
	v_trunc_f64_e32 v[49:50], v[44:45]
	v_cndmask_b32_e64 v35, 0x7ff00000, v33, s2
	v_fma_f64 v[24:25], v[22:23], v[24:25], s[50:51]
	v_fma_f64 v[30:31], v[30:31], v[18:19], v[47:48]
	v_cndmask_b32_e64 v47, 0, v32, s1
	v_ldexp_f64 v[18:19], v[18:19], 1
	v_cndmask_b32_e64 v48, 0, v35, s3
	v_cmp_class_f64_e64 s3, v[47:48], 0x204
	v_add_f64 v[33:34], v[55:56], -v[53:54]
	v_add_f64 v[42:43], v[42:43], s[8:9]
	v_trunc_f64_e32 v[55:56], v[40:41]
	v_fma_f64 v[53:54], v[47:48], v[28:29], v[47:48]
	v_cmp_neq_f64_e64 s1, v[49:50], v[44:45]
	v_fma_f64 v[24:25], v[22:23], v[24:25], s[46:47]
	v_fma_f64 v[28:29], v[26:27], v[20:21], v[30:31]
	s_mov_b32 s46, 0xcccccccd
	s_mov_b32 s47, 0xc1034388
	v_ldexp_f64 v[20:21], v[20:21], 1
	v_add_f64 v[34:35], v[42:43], v[33:34]
	v_cmp_eq_f64_e64 s2, v[55:56], v[40:41]
	v_add_f64 v[42:43], v[22:23], -v[51:52]
	v_cndmask_b32_e64 v44, v54, v48, s3
	v_cndmask_b32_e64 v47, v53, v47, s3
	v_cmp_eq_f64_e64 s3, 0, v[6:7]
	v_div_scale_f64 v[40:41], null, v[4:5], v[4:5], 0xc11cafc0
	v_fma_f64 v[32:33], v[22:23], v[24:25], s[48:49]
	v_add_f64 v[30:31], v[16:17], v[28:29]
	v_cmp_class_f64_e64 s48, v[6:7], 0x204
	v_add_f64 v[26:27], v[38:39], v[34:35]
	s_and_b32 s1, s2, s1
	v_cndmask_b32_e64 v48, 0, v47, s2
	v_cndmask_b32_e64 v45, 0x3ff00000, v7, s1
	v_add_f64 v[36:37], v[36:37], -v[42:43]
	v_cndmask_b32_e64 v59, 0x7ff00000, 0, s3
	v_cndmask_b32_e64 v60, 0, v7, s1
	v_div_scale_f64 v[42:43], null, v[4:5], v[4:5], 0xc0f6f300
	v_mul_f64 v[24:25], v[22:23], v[32:33]
	v_bfi_b32 v57, 0x7fffffff, v44, v45
	v_add_f64 v[55:56], v[30:31], -v[16:17]
	s_or_b32 s1, s3, s48
	v_div_scale_f64 v[44:45], null, v[4:5], v[4:5], s[46:47]
	v_cndmask_b32_e64 v58, 0x7ff80000, v57, s2
	v_cmp_gt_f64_e64 s2, 0, v[6:7]
	v_rcp_f64_e32 v[53:54], v[40:41]
	v_add_f64 v[49:50], v[38:39], -v[26:27]
	v_mul_f64 v[38:39], v[30:31], v[26:27]
	v_fma_f64 v[51:52], v[22:23], v[32:33], -v[24:25]
	v_add_f64 v[28:29], v[28:29], -v[55:56]
	v_cndmask_b32_e64 v17, v57, v58, s2
	v_cndmask_b32_e64 v16, v47, v48, s2
	v_rcp_f64_e32 v[57:58], v[44:45]
	v_add_f64 v[34:35], v[34:35], v[49:50]
	v_bfi_b32 v49, 0x7fffffff, v59, v60
	v_cndmask_b32_e64 v16, v16, 0, s1
	v_fma_f64 v[47:48], v[30:31], v[26:27], -v[38:39]
	v_fma_f64 v[59:60], -v[40:41], v[53:54], 1.0
	v_cndmask_b32_e64 v17, v17, v49, s1
	v_div_scale_f64 v[49:50], null, 0x40f86a00, 0x40f86a00, v[4:5]
	v_fma_f64 v[32:33], v[36:37], v[32:33], v[51:52]
	v_rcp_f64_e32 v[51:52], v[42:43]
	v_add_f64 v[16:17], v[16:17], 1.0
	v_fma_f64 v[30:31], v[30:31], v[34:35], v[47:48]
	v_fma_f64 v[53:54], v[53:54], v[59:60], v[53:54]
	v_fma_f64 v[59:60], -v[44:45], v[57:58], 1.0
	v_rcp_f64_e32 v[55:56], v[49:50]
	v_add_f64 v[34:35], v[24:25], v[32:33]
	v_div_scale_f64 v[47:48], null, v[16:17], v[16:17], 1.0
	v_fma_f64 v[61:62], -v[42:43], v[51:52], 1.0
	v_fma_f64 v[26:27], v[28:29], v[26:27], v[30:31]
	v_mul_f64 v[28:29], v[14:15], v[22:23]
	v_fma_f64 v[57:58], v[57:58], v[59:60], v[57:58]
	v_add_f64 v[30:31], v[34:35], s[6:7]
	v_add_f64 v[24:25], v[34:35], -v[24:25]
	v_rcp_f64_e32 v[63:64], v[47:48]
	v_fma_f64 v[65:66], -v[49:50], v[55:56], 1.0
	v_fma_f64 v[51:52], v[51:52], v[61:62], v[51:52]
	v_fma_f64 v[61:62], -v[40:41], v[53:54], 1.0
	v_add_f64 v[59:60], v[38:39], v[26:27]
	v_fma_f64 v[71:72], v[22:23], v[14:15], -v[28:29]
	v_add_f64 v[73:74], v[30:31], s[12:13]
	v_add_f64 v[24:25], v[32:33], -v[24:25]
	s_mov_b32 s12, 0x9999999a
	v_fma_f64 v[55:56], v[55:56], v[65:66], v[55:56]
	v_fma_f64 v[32:33], -v[47:48], v[63:64], 1.0
	v_fma_f64 v[53:54], v[53:54], v[61:62], v[53:54]
	v_fma_f64 v[61:62], -v[44:45], v[57:58], 1.0
	v_mul_f64 v[65:66], v[69:70], s[16:17]
	v_fma_f64 v[75:76], -v[42:43], v[51:52], 1.0
	s_mov_b32 s13, 0xc1116a5d
	v_add_f64 v[38:39], v[59:60], -v[38:39]
	v_fma_f64 v[22:23], v[22:23], v[12:13], v[71:72]
	v_div_scale_f64 v[71:72], s1, 0xc11cafc0, v[4:5], 0xc11cafc0
	v_ldexp_f64 v[12:13], v[12:13], 1
	v_add_f64 v[34:35], v[34:35], -v[73:74]
	v_add_f64 v[73:74], v[20:21], v[59:60]
	v_add_f64 v[24:25], v[24:25], s[8:9]
	v_fma_f64 v[32:33], v[63:64], v[32:33], v[63:64]
	v_div_scale_f64 v[63:64], s2, 0xc0f6f300, v[4:5], 0xc0f6f300
	v_fma_f64 v[57:58], v[57:58], v[61:62], v[57:58]
	v_fma_f64 v[51:52], v[51:52], v[75:76], v[51:52]
	v_fma_f64 v[75:76], -v[49:50], v[55:56], 1.0
	v_fma_f64 v[61:62], v[69:70], s[16:17], -v[65:66]
	v_add_f64 v[26:27], v[26:27], -v[38:39]
	v_fma_f64 v[22:23], v[36:37], v[14:15], v[22:23]
	v_mul_f64 v[38:39], v[71:72], v[53:54]
	v_div_scale_f64 v[36:37], s3, s[46:47], v[4:5], s[46:47]
	v_ldexp_f64 v[14:15], v[14:15], 1
	v_add_f64 v[20:21], v[73:74], -v[20:21]
	v_add_f64 v[24:25], v[24:25], v[34:35]
	v_fma_f64 v[34:35], -v[47:48], v[32:33], 1.0
	v_fma_f64 v[55:56], v[55:56], v[75:76], v[55:56]
	v_div_scale_f64 v[75:76], s6, v[4:5], 0x40f86a00, v[4:5]
	v_fma_f64 v[61:62], v[69:70], s[44:45], v[61:62]
	v_mul_f64 v[69:70], v[63:64], v[51:52]
	v_add_f64 v[18:19], v[18:19], v[26:27]
	v_add_f64 v[26:27], v[28:29], v[22:23]
	v_fma_f64 v[40:41], -v[40:41], v[38:39], v[71:72]
	v_mul_f64 v[71:72], v[36:37], v[57:58]
	v_add_f64 v[20:21], v[59:60], -v[20:21]
	v_add_f64 v[59:60], v[30:31], v[24:25]
	v_fma_f64 v[32:33], v[32:33], v[34:35], v[32:33]
	v_div_scale_f64 v[34:35], vcc_lo, 1.0, v[16:17], 1.0
	v_fma_f64 v[42:43], -v[42:43], v[69:70], v[63:64]
	v_mul_f64 v[63:64], v[75:76], v[55:56]
	v_add_f64 v[28:29], v[26:27], -v[28:29]
	v_fma_f64 v[36:37], -v[44:45], v[71:72], v[36:37]
	v_add_f64 v[20:21], v[18:19], v[20:21]
	v_add_f64 v[18:19], v[30:31], -v[59:60]
	v_mul_f64 v[30:31], v[26:27], v[59:60]
	v_mul_f64 v[44:45], v[34:35], v[32:33]
	v_fma_f64 v[49:50], -v[49:50], v[63:64], v[75:76]
	v_add_f64 v[75:76], v[65:66], v[61:62]
	v_add_f64 v[28:29], v[22:23], -v[28:29]
	v_add_f64 v[18:19], v[24:25], v[18:19]
	v_fma_f64 v[24:25], v[26:27], v[59:60], -v[30:31]
	v_fma_f64 v[34:35], -v[47:48], v[44:45], v[34:35]
	v_add_f64 v[47:48], v[73:74], v[20:21]
	v_fma_f64 v[77:78], v[26:27], v[18:19], v[24:25]
	v_div_fmas_f64 v[18:19], v[34:35], v[32:33], v[44:45]
	s_mov_b32 vcc_lo, s1
	v_add_f64 v[79:80], v[75:76], v[47:48]
	v_div_fmas_f64 v[26:27], v[40:41], v[53:54], v[38:39]
	s_mov_b32 vcc_lo, s2
	v_add_f64 v[38:39], v[75:76], -v[65:66]
	v_div_fmas_f64 v[24:25], v[42:43], v[51:52], v[69:70]
	s_mov_b32 vcc_lo, s3
	v_frexp_exp_i32_f64_e32 v42, v[10:11]
	v_div_fmas_f64 v[22:23], v[36:37], v[57:58], v[71:72]
	s_mov_b32 vcc_lo, s6
	v_add_f64 v[40:41], v[47:48], -v[73:74]
	v_div_fmas_f64 v[32:33], v[49:50], v[55:56], v[63:64]
	v_fma_f64 v[28:29], v[28:29], v[59:60], v[77:78]
	v_div_scale_f64 v[58:59], null, v[4:5], v[4:5], s[12:13]
	v_div_scale_f64 v[77:78], s6, 0xc12345b6, v[4:5], 0xc12345b6
	v_add_f64 v[34:35], v[79:80], -v[75:76]
	v_div_fixup_f64 v[16:17], v[18:19], v[16:17], 1.0
	v_div_fixup_f64 v[24:25], v[24:25], v[4:5], 0xc0f6f300
	v_subrev_co_ci_u32_e64 v44, null, 0, v42, s0
	v_cmp_eq_f64_e64 s0, 1.0, v[4:5]
	v_add_f64 v[20:21], v[20:21], -v[40:41]
	v_div_fixup_f64 v[32:33], v[32:33], 0x40f86a00, v[4:5]
	v_cvt_f64_i32_e32 v[44:45], v44
	v_div_fixup_f64 v[22:23], v[22:23], v[4:5], s[46:47]
	v_add_f64 v[36:37], v[30:31], v[28:29]
	v_add_f64 v[42:43], v[79:80], -v[34:35]
	v_add_f64 v[34:35], v[47:48], -v[34:35]
	v_cmp_gt_f64_e32 vcc_lo, 0x10000000, v[32:33]
	v_mul_f64 v[40:41], v[44:45], s[16:17]
	v_add_f64 v[49:50], v[14:15], v[36:37]
	v_add_f64 v[30:31], v[36:37], -v[30:31]
	v_cndmask_b32_e64 v51, 0, 0x100, vcc_lo
	v_ldexp_f64 v[51:52], v[32:33], v51
	v_add_f64 v[32:33], v[61:62], -v[38:39]
	v_add_f64 v[38:39], v[75:76], -v[42:43]
	;; [unrolled: 1-line block ×4, first 2 shown]
	v_div_scale_f64 v[62:63], null, v[4:5], v[4:5], 0xc12345b6
	v_rsq_f64_e32 v[42:43], v[51:52]
	v_add_f64 v[30:31], v[32:33], v[20:21]
	v_add_f64 v[34:35], v[34:35], v[38:39]
	v_fma_f64 v[38:39], v[44:45], s[16:17], -v[40:41]
	v_add_f64 v[14:15], v[36:37], -v[14:15]
	v_add_f64 v[12:13], v[12:13], v[28:29]
	v_add_f64 v[34:35], v[30:31], v[34:35]
	v_mul_f64 v[28:29], v[51:52], v[42:43]
	v_mul_f64 v[36:37], v[42:43], 0.5
	v_add_f64 v[42:43], v[30:31], -v[32:33]
	v_fma_f64 v[38:39], v[44:45], s[44:45], v[38:39]
	v_add_f64 v[14:15], v[12:13], v[14:15]
	v_add_f64 v[44:45], v[79:80], v[34:35]
	v_fma_f64 v[12:13], -v[36:37], v[28:29], 0.5
	v_add_f64 v[30:31], v[30:31], -v[42:43]
	v_add_f64 v[47:48], v[40:41], v[38:39]
	v_add_f64 v[53:54], v[49:50], v[14:15]
	v_add_f64 v[20:21], v[20:21], -v[42:43]
	v_fma_f64 v[28:29], v[28:29], v[12:13], v[28:29]
	v_add_f64 v[30:31], v[32:33], -v[30:31]
	v_add_f64 v[32:33], v[44:45], -v[79:80]
	v_add_f64 v[42:43], v[47:48], v[53:54]
	v_fma_f64 v[36:37], v[36:37], v[12:13], v[36:37]
	v_fma_f64 v[12:13], -v[28:29], v[28:29], v[51:52]
	v_add_f64 v[20:21], v[20:21], v[30:31]
	v_add_f64 v[30:31], v[34:35], -v[32:33]
	v_add_f64 v[32:33], v[42:43], -v[47:48]
	;; [unrolled: 1-line block ×3, first 2 shown]
	v_fma_f64 v[28:29], v[12:13], v[36:37], v[28:29]
	v_add_f64 v[20:21], v[20:21], v[30:31]
	v_add_f64 v[30:31], v[47:48], -v[40:41]
	v_add_f64 v[40:41], v[42:43], -v[32:33]
	;; [unrolled: 1-line block ×4, first 2 shown]
	v_fma_f64 v[49:50], -v[28:29], v[28:29], v[51:52]
	v_add_f64 v[12:13], v[44:45], v[20:21]
	v_add_f64 v[38:39], v[38:39], -v[30:31]
	v_add_f64 v[34:35], v[47:48], -v[40:41]
	v_cndmask_b32_e64 v31, 0xbfe45460, v46, s0
	v_cndmask_b32_e64 v30, 0xaa64c2f8, 0, s0
	v_mul_f64 v[60:61], v[30:31], 0.5
	v_cmp_gt_f64_e64 s9, 0, v[30:31]
	v_fma_f64 v[28:29], v[49:50], v[36:37], v[28:29]
	v_add_f64 v[36:37], v[12:13], -v[44:45]
	v_mul_f64 v[32:33], v[30:31], v[12:13]
	v_add_f64 v[40:41], v[38:39], v[55:56]
	v_add_f64 v[34:35], v[14:15], v[34:35]
	v_cndmask_b32_e64 v44, 0, 0xffffff80, vcc_lo
	v_cmp_class_f64_e64 vcc_lo, v[51:52], 0x260
	v_trunc_f64_e32 v[71:72], v[60:61]
	v_ldexp_f64 v[28:29], v[28:29], v44
	v_add_f64 v[14:15], v[20:21], -v[36:37]
	v_fma_f64 v[36:37], v[30:31], v[12:13], -v[32:33]
	v_add_f64 v[44:45], v[40:41], -v[38:39]
	v_add_f64 v[47:48], v[40:41], v[34:35]
	v_cmp_neq_f64_e64 s1, v[71:72], v[60:61]
	v_cndmask_b32_e32 v21, v29, v52, vcc_lo
	v_cndmask_b32_e32 v20, v28, v51, vcc_lo
	v_cmp_class_f64_e64 vcc_lo, v[32:33], 0x204
	v_fma_f64 v[34:35], v[30:31], v[14:15], v[36:37]
	v_add_f64 v[28:29], v[40:41], -v[44:45]
	v_add_f64 v[50:51], v[42:43], v[47:48]
	v_add_f64 v[20:21], v[20:21], 1.0
	v_add_f64 v[36:37], v[55:56], -v[44:45]
	v_rcp_f64_e32 v[54:55], v[58:59]
	v_add_f64 v[40:41], v[32:33], v[34:35]
	v_add_f64 v[28:29], v[38:39], -v[28:29]
	v_add_f64 v[42:43], v[50:51], -v[42:43]
	v_div_scale_f64 v[52:53], null, v[20:21], v[20:21], 1.0
	v_fma_f64 v[69:70], -v[58:59], v[54:55], 1.0
	v_cndmask_b32_e32 v39, v41, v33, vcc_lo
	v_cndmask_b32_e32 v38, v40, v32, vcc_lo
	v_add_f64 v[28:29], v[36:37], v[28:29]
	v_rcp_f64_e32 v[44:45], v[52:53]
	v_add_f64 v[42:43], v[47:48], -v[42:43]
	v_mov_b32_e32 v36, 0
	v_mul_f64 v[56:57], v[38:39], s[10:11]
	v_cndmask_b32_e64 v37, 0xbff80000, v46, s0
	v_cmp_eq_f64_e32 vcc_lo, 1.0, v[10:11]
	v_fma_f64 v[69:70], v[54:55], v[69:70], v[54:55]
	v_add_f64 v[32:33], v[40:41], -v[32:33]
	v_mul_f64 v[66:67], v[36:37], 0.5
	v_cmp_gt_f64_e64 s16, 0, v[36:37]
	v_add_f64 v[28:29], v[28:29], v[42:43]
	v_fma_f64 v[64:65], -v[52:53], v[44:45], 1.0
	v_rndne_f64_e32 v[48:49], v[56:57]
	v_rcp_f64_e32 v[56:57], v[62:63]
	v_cndmask_b32_e32 v43, 0xbfc99999, v46, vcc_lo
	v_cndmask_b32_e64 v42, 0x9999999a, 0, vcc_lo
	v_mul_f64 v[60:61], v[42:43], 0.5
	v_add_f64 v[73:74], v[50:51], v[28:29]
	v_fma_f64 v[64:65], v[44:45], v[64:65], v[44:45]
	v_trunc_f64_e32 v[44:45], v[66:67]
	v_fma_f64 v[54:55], v[48:49], s[14:15], v[38:39]
	v_fma_f64 v[46:47], -v[62:63], v[56:57], 1.0
	v_add_f64 v[50:51], v[73:74], -v[50:51]
	v_fma_f64 v[71:72], -v[52:53], v[64:65], 1.0
	v_cmp_neq_f64_e64 s3, v[44:45], v[66:67]
	v_fma_f64 v[66:67], -v[58:59], v[69:70], 1.0
	v_fma_f64 v[54:55], v[48:49], s[40:41], v[54:55]
	v_mul_f64 v[44:45], v[42:43], v[73:74]
	v_fma_f64 v[56:57], v[56:57], v[46:47], v[56:57]
	v_trunc_f64_e32 v[46:47], v[60:61]
	v_add_f64 v[28:29], v[28:29], -v[50:51]
	v_fma_f64 v[71:72], v[64:65], v[71:72], v[64:65]
	v_div_scale_f64 v[64:65], vcc_lo, 1.0, v[20:21], 1.0
	v_fma_f64 v[69:70], v[69:70], v[66:67], v[69:70]
	v_fma_f64 v[66:67], v[54:55], s[22:23], s[18:19]
	v_fma_f64 v[50:51], v[42:43], v[73:74], -v[44:45]
	v_div_scale_f64 v[73:74], s7, s[12:13], v[4:5], s[12:13]
	v_cmp_neq_f64_e64 s2, v[46:47], v[60:61]
	v_fma_f64 v[75:76], -v[62:63], v[56:57], 1.0
	v_cmp_class_f64_e64 s8, v[44:45], 0x204
	v_mul_f64 v[60:61], v[64:65], v[71:72]
	v_fma_f64 v[66:67], v[54:55], v[66:67], s[24:25]
	v_fma_f64 v[46:47], v[42:43], v[28:29], v[50:51]
	v_mul_f64 v[50:51], v[73:74], v[69:70]
	v_fma_f64 v[28:29], -v[52:53], v[60:61], v[64:65]
	v_fma_f64 v[64:65], v[56:57], v[75:76], v[56:57]
	v_mul_f64 v[56:57], v[36:37], v[12:13]
	v_fma_f64 v[52:53], v[54:55], v[66:67], s[26:27]
	v_fma_f64 v[73:74], -v[58:59], v[50:51], v[73:74]
	v_add_f64 v[58:59], v[44:45], v[46:47]
	v_div_fmas_f64 v[28:29], v[28:29], v[71:72], v[60:61]
	v_mul_f64 v[66:67], v[77:78], v[64:65]
	v_fma_f64 v[71:72], v[36:37], v[12:13], -v[56:57]
	v_fma_f64 v[75:76], v[54:55], v[52:53], s[28:29]
	s_mov_b32 vcc_lo, s7
	v_cmp_nlt_f64_e64 s7, 0x40900000, v[38:39]
	v_cndmask_b32_e64 v53, v59, v45, s8
	v_cndmask_b32_e64 v52, v58, v44, s8
	v_div_fmas_f64 v[60:61], v[73:74], v[69:70], v[50:51]
	s_mov_b32 vcc_lo, s6
	v_cmp_class_f64_e64 s6, v[56:57], 0x204
	v_cmp_ngt_f64_e64 s8, 0xc090cc00, v[38:39]
	v_mul_f64 v[69:70], v[52:53], s[10:11]
	v_add_f64 v[44:45], v[58:59], -v[44:45]
	v_div_fixup_f64 v[20:21], v[28:29], v[20:21], 1.0
	v_fma_f64 v[73:74], -v[62:63], v[66:67], v[77:78]
	v_fma_f64 v[50:51], v[36:37], v[14:15], v[71:72]
	v_fma_f64 v[71:72], v[54:55], v[75:76], s[30:31]
	v_trunc_f64_e32 v[75:76], v[42:43]
	v_cvt_i32_f64_e32 v77, v[48:49]
	v_rndne_f64_e32 v[62:63], v[69:70]
	v_add_f64 v[44:45], v[46:47], -v[44:45]
	v_div_fmas_f64 v[64:65], v[73:74], v[64:65], v[66:67]
	v_add_f64 v[66:67], v[56:57], v[50:51]
	v_fma_f64 v[69:70], v[54:55], v[71:72], s[34:35]
	v_cmp_eq_f64_e32 vcc_lo, v[75:76], v[42:43]
	v_add_f64 v[75:76], v[34:35], -v[32:33]
	v_fma_f64 v[71:72], v[62:63], s[14:15], v[52:53]
	v_cndmask_b32_e64 v74, v67, v57, s6
	v_cndmask_b32_e64 v73, v66, v56, s6
	v_fma_f64 v[40:41], v[54:55], v[69:70], s[38:39]
	v_cmp_neq_f64_e64 s6, 0x7ff00000, |v[38:39]|
	v_mul_f64 v[38:39], v[24:25], s[10:11]
	v_add_f64 v[56:57], v[66:67], -v[56:57]
	v_mul_f64 v[69:70], v[73:74], s[10:11]
	s_and_b32 s2, vcc_lo, s2
	v_fma_f64 v[71:72], v[62:63], s[40:41], v[71:72]
	v_fma_f64 v[40:41], v[54:55], v[40:41], s[42:43]
	v_cndmask_b32_e64 v58, 0, v75, s6
	v_rndne_f64_e32 v[38:39], v[38:39]
	v_cndmask_b32_e64 v59, 0, v76, s6
	v_rndne_f64_e32 v[69:70], v[69:70]
	s_and_b32 s6, s8, s7
	v_add_f64 v[50:51], v[50:51], -v[56:57]
	v_fma_f64 v[32:33], v[71:72], s[22:23], s[18:19]
	v_fma_f64 v[34:35], v[54:55], v[40:41], s[36:37]
	;; [unrolled: 1-line block ×3, first 2 shown]
	v_cvt_i32_f64_e32 v75, v[69:70]
	v_fma_f64 v[32:33], v[71:72], v[32:33], s[24:25]
	v_fma_f64 v[34:35], v[54:55], v[34:35], 1.0
	v_fma_f64 v[40:41], v[69:70], s[40:41], v[40:41]
	v_fma_f64 v[32:33], v[71:72], v[32:33], s[26:27]
	v_fma_f64 v[48:49], v[54:55], v[34:35], 1.0
	v_fma_f64 v[34:35], v[40:41], s[22:23], s[18:19]
	v_fma_f64 v[32:33], v[71:72], v[32:33], s[28:29]
	v_ldexp_f64 v[48:49], v[48:49], v77
	v_cvt_i32_f64_e32 v77, v[62:63]
	v_fma_f64 v[34:35], v[40:41], v[34:35], s[24:25]
	v_fma_f64 v[32:33], v[71:72], v[32:33], s[30:31]
	v_cndmask_b32_e64 v49, 0x7ff00000, v49, s7
	v_cndmask_b32_e64 v48, 0, v48, s6
	v_cmp_neq_f64_e64 s6, 0x7ff00000, |v[52:53]|
	v_cmp_nlt_f64_e64 s7, 0x40900000, v[52:53]
	v_fma_f64 v[34:35], v[40:41], v[34:35], s[26:27]
	v_cndmask_b32_e64 v49, 0, v49, s8
	v_cmp_ngt_f64_e64 s8, 0xc090cc00, v[52:53]
	v_fma_f64 v[52:53], v[38:39], s[14:15], v[24:25]
	v_fma_f64 v[32:33], v[71:72], v[32:33], s[34:35]
	;; [unrolled: 1-line block ×10, first 2 shown]
	v_div_fixup_f64 v[34:35], v[26:27], v[4:5], 0xc11cafc0
	v_fma_f64 v[32:33], v[71:72], v[32:33], 1.0
	v_fma_f64 v[26:27], v[40:41], v[54:55], s[42:43]
	v_fma_f64 v[54:55], v[71:72], v[32:33], 1.0
	v_mul_f64 v[32:33], v[34:35], s[10:11]
	v_fma_f64 v[71:72], v[40:41], v[26:27], s[36:37]
	v_div_fixup_f64 v[26:27], v[60:61], v[4:5], s[12:13]
	v_ldexp_f64 v[54:55], v[54:55], v77
	v_rndne_f64_e32 v[60:61], v[32:33]
	v_div_fixup_f64 v[32:33], v[64:65], v[4:5], 0xc12345b6
	v_mul_f64 v[64:65], v[22:23], s[10:11]
	v_fma_f64 v[62:63], v[40:41], v[71:72], 1.0
	v_mul_f64 v[66:67], v[26:27], s[10:11]
	v_cndmask_b32_e64 v76, 0x7ff00000, v55, s7
	v_fma_f64 v[69:70], v[60:61], s[14:15], v[34:35]
	v_mul_f64 v[71:72], v[32:33], s[10:11]
	v_rndne_f64_e32 v[46:47], v[64:65]
	v_cmp_class_f64_e64 s11, v[48:49], 0x204
	v_cmp_gt_f64_e64 s10, 0, v[42:43]
	v_trunc_f64_e32 v[42:43], v[36:37]
	v_fma_f64 v[40:41], v[40:41], v[62:63], 1.0
	v_trunc_f64_e32 v[62:63], v[30:31]
	v_rndne_f64_e32 v[64:65], v[66:67]
	v_fma_f64 v[66:67], v[60:61], s[40:41], v[69:70]
	v_rndne_f64_e32 v[69:70], v[71:72]
	v_fma_f64 v[55:56], v[46:47], s[14:15], v[22:23]
	v_cndmask_b32_e64 v59, v59, v49, s11
	v_cvt_i32_f64_e32 v60, v[60:61]
	v_cmp_eq_f64_e64 s13, v[42:43], v[36:37]
	v_ldexp_f64 v[40:41], v[40:41], v75
	v_cndmask_b32_e64 v75, v58, v48, s11
	v_cmp_eq_f64_e64 s12, v[62:63], v[30:31]
	v_cndmask_b32_e64 v31, 0, v45, s6
	v_cndmask_b32_e64 v30, 0, v44, s6
	v_fma_f64 v[44:45], v[38:39], s[40:41], v[52:53]
	v_fma_f64 v[57:58], v[64:65], s[14:15], v[26:27]
	;; [unrolled: 1-line block ×4, first 2 shown]
	s_and_b32 s6, s8, s7
	v_cndmask_b32_e64 v53, 0, v76, s8
	v_cndmask_b32_e64 v52, 0, v54, s6
	v_fma_f64 v[42:43], v[46:47], s[40:41], v[55:56]
	v_cmp_neq_f64_e64 s6, 0x7ff00000, |v[73:74]|
	v_cmp_nlt_f64_e64 s14, 0x40900000, v[73:74]
	v_cmp_ngt_f64_e64 s15, 0xc090cc00, v[73:74]
	v_fma_f64 v[30:31], v[52:53], v[30:31], v[52:53]
	v_cmp_class_f64_e64 s7, v[52:53], 0x204
	v_cmp_eq_f64_e64 s8, 0, v[10:11]
	s_and_b32 s3, s13, s3
	s_mov_b32 s11, 0x3dd716f9
	v_cndmask_b32_e64 v76, 0, v75, s12
	v_fma_f64 v[54:55], v[44:45], s[22:23], s[18:19]
	v_fma_f64 v[56:57], v[64:65], s[40:41], v[57:58]
	;; [unrolled: 1-line block ×4, first 2 shown]
	v_cndmask_b32_e64 v71, 0x3ff00000, v11, s2
	v_cndmask_b32_e64 v72, 0, v11, s2
	;; [unrolled: 1-line block ×4, first 2 shown]
	s_and_b32 s6, s12, s1
	s_and_b32 s1, s15, s14
	v_cndmask_b32_e64 v73, v30, v52, s7
	v_cndmask_b32_e64 v74, v31, v53, s7
	v_fma_f64 v[30:31], v[42:43], s[22:23], s[18:19]
	v_cndmask_b32_e64 v40, 0, v40, s1
	v_cmp_eq_f64_e64 s1, 0, v[4:5]
	v_cndmask_b32_e64 v41, 0x7ff00000, v41, s14
	v_cndmask_b32_e64 v77, 0x3ff00000, v5, s6
	v_cmp_class_f64_e64 s7, v[4:5], 0x204
	v_bfi_b32 v71, 0x7fffffff, v74, v71
	v_cndmask_b32_e32 v74, 0, v73, vcc_lo
	v_fma_f64 v[48:49], v[44:45], v[54:55], s[24:25]
	v_fma_f64 v[52:53], v[56:57], s[22:23], s[18:19]
	;; [unrolled: 1-line block ×4, first 2 shown]
	v_cndmask_b32_e64 v41, 0, v41, s15
	v_bfi_b32 v59, 0x7fffffff, v59, v77
	v_cndmask_b32_e32 v61, 0x7ff80000, v71, vcc_lo
	v_cmp_gt_f64_e32 vcc_lo, 0, v[10:11]
	v_cndmask_b32_e64 v77, 0, v5, s6
	v_fma_f64 v[50:51], v[40:41], v[50:51], v[40:41]
	s_xor_b32 s10, s8, s10
	s_mov_b32 s14, 0x77318fc5
	v_cndmask_b32_e64 v58, 0x7ff00000, 0, s10
	s_mov_b32 s10, 0x798c4336
	v_fma_f64 v[30:31], v[42:43], v[30:31], s[24:25]
	s_mov_b32 s15, 0x3f5f212d
	s_xor_b32 s2, s1, s9
	v_cmp_class_f64_e64 s9, v[40:41], 0x204
	v_bfi_b32 v58, 0x7fffffff, v58, v72
	s_or_b32 s6, s1, s7
	v_cndmask_b32_e64 v72, 0x3ff00000, v5, s3
	s_mov_b32 s18, 0x5013f7f4
	v_fma_f64 v[48:49], v[44:45], v[48:49], s[26:27]
	v_fma_f64 v[52:53], v[56:57], v[52:53], s[24:25]
	;; [unrolled: 1-line block ×4, first 2 shown]
	s_mov_b32 s22, 0xbcf44c2d
	s_mov_b32 s24, 0x895acc60
	;; [unrolled: 1-line block ×5, first 2 shown]
	v_fma_f64 v[30:31], v[42:43], v[30:31], s[26:27]
	v_cndmask_b32_e64 v50, v50, v40, s9
	v_cndmask_b32_e64 v40, v51, v41, s9
	v_cvt_i32_f64_e32 v51, v[46:47]
	v_cndmask_b32_e32 v46, v73, v74, vcc_lo
	v_cndmask_b32_e32 v47, v71, v61, vcc_lo
	v_fma_f64 v[48:49], v[44:45], v[48:49], s[28:29]
	v_fma_f64 v[52:53], v[56:57], v[52:53], s[26:27]
	;; [unrolled: 1-line block ×4, first 2 shown]
	v_cmp_ngt_f64_e64 s9, 0xc090cc00, v[34:35]
	s_mov_b32 s26, 0x33333333
	s_mov_b32 s27, 0x3fd33333
	v_fma_f64 v[30:31], v[42:43], v[30:31], s[28:29]
	v_fma_f64 v[48:49], v[44:45], v[48:49], s[30:31]
	;; [unrolled: 1-line block ×5, first 2 shown]
	s_mov_b32 s28, 0xe361ce4c
	s_mov_b32 s29, 0x3de49da7
	v_fma_f64 v[30:31], v[42:43], v[30:31], s[30:31]
	v_fma_f64 v[48:49], v[44:45], v[48:49], s[34:35]
	v_fma_f64 v[52:53], v[56:57], v[52:53], s[30:31]
	v_fma_f64 v[36:37], v[66:67], v[36:37], s[38:39]
	v_fma_f64 v[54:55], v[62:63], v[54:55], s[30:31]
	v_fma_f64 v[30:31], v[42:43], v[30:31], s[34:35]
	v_fma_f64 v[48:49], v[44:45], v[48:49], s[38:39]
	v_fma_f64 v[52:53], v[56:57], v[52:53], s[34:35]
	v_fma_f64 v[36:37], v[66:67], v[36:37], s[42:43]
	v_fma_f64 v[54:55], v[62:63], v[54:55], s[34:35]
	v_fma_f64 v[30:31], v[42:43], v[30:31], s[38:39]
	v_fma_f64 v[48:49], v[44:45], v[48:49], s[42:43]
	v_fma_f64 v[52:53], v[56:57], v[52:53], s[38:39]
	v_fma_f64 v[36:37], v[66:67], v[36:37], s[36:37]
	v_fma_f64 v[54:55], v[62:63], v[54:55], s[38:39]
	v_fma_f64 v[30:31], v[42:43], v[30:31], s[42:43]
	v_fma_f64 v[48:49], v[44:45], v[48:49], s[36:37]
	v_fma_f64 v[52:53], v[56:57], v[52:53], s[42:43]
	v_fma_f64 v[36:37], v[66:67], v[36:37], 1.0
	v_fma_f64 v[54:55], v[62:63], v[54:55], s[42:43]
	v_fma_f64 v[30:31], v[42:43], v[30:31], s[36:37]
	v_fma_f64 v[48:49], v[44:45], v[48:49], 1.0
	v_fma_f64 v[52:53], v[56:57], v[52:53], s[36:37]
	v_fma_f64 v[36:37], v[66:67], v[36:37], 1.0
	v_cndmask_b32_e64 v67, 0x7ff00000, 0, s2
	v_cmp_gt_f64_e64 s2, 0, v[4:5]
	v_fma_f64 v[54:55], v[62:63], v[54:55], s[36:37]
	v_cndmask_b32_e64 v66, 0x7ff80000, v59, s12
	s_xor_b32 s12, s1, s16
	v_fma_f64 v[30:31], v[42:43], v[30:31], 1.0
	v_fma_f64 v[44:45], v[44:45], v[48:49], 1.0
	;; [unrolled: 1-line block ×3, first 2 shown]
	v_ldexp_f64 v[36:37], v[36:37], v60
	v_cvt_i32_f64_e32 v60, v[64:65]
	v_cndmask_b32_e64 v59, v59, v66, s2
	v_cndmask_b32_e64 v66, 0x7ff00000, 0, s12
	v_cmp_class_f64_e64 s12, v[10:11], 0x204
	v_fma_f64 v[52:53], v[62:63], v[54:55], 1.0
	v_cvt_i32_f64_e32 v54, v[38:39]
	v_div_fixup_f64 v[38:39], v[8:9], v[2:3], 1.0
	v_cndmask_b32_e64 v8, v75, v76, s2
	v_bfi_b32 v9, 0x7fffffff, v67, v77
	v_cndmask_b32_e64 v55, 0, v5, s3
	v_cmp_u_f64_e64 s3, v[4:5], v[4:5]
	v_fma_f64 v[30:31], v[42:43], v[30:31], 1.0
	v_cndmask_b32_e64 v8, v8, 0, s6
	v_cndmask_b32_e64 v9, v59, v9, s6
	v_bfi_b32 v59, 0x7fffffff, v40, v72
	v_mul_f64 v[40:41], v[8:9], s[28:29]
	v_fma_f64 v[8:9], v[56:57], v[48:49], 1.0
	v_cvt_i32_f64_e32 v48, v[69:70]
	s_or_b32 vcc_lo, s8, s12
	v_cmp_nlt_f64_e64 s8, 0x40900000, v[34:35]
	v_fma_f64 v[42:43], v[62:63], v[52:53], 1.0
	v_cndmask_b32_e32 v49, v47, v58, vcc_lo
	v_cndmask_b32_e64 v52, v46, 0, vcc_lo
	v_cmp_o_f64_e32 vcc_lo, v[10:11], v[10:11]
	v_cndmask_b32_e64 v10, 0x7ff80000, v59, s13
	v_bfi_b32 v11, 0x7fffffff, v66, v55
	v_cndmask_b32_e64 v53, 0, v50, s13
	v_ldexp_f64 v[44:45], v[44:45], v54
	s_or_b32 s12, s3, s6
	v_cndmask_b32_e64 v10, v59, v10, s2
	v_mul_f64 v[46:47], v[38:39], s[10:11]
	v_cndmask_b32_e64 v50, v50, v53, s2
	v_ldexp_f64 v[30:31], v[30:31], v51
	s_mov_b32 s11, 0x3df716f9
	v_cmp_ngt_f64_e64 s13, 0xc090cc00, v[32:33]
	v_ldexp_f64 v[34:35], v[8:9], v60
	v_cndmask_b32_e64 v9, v10, v11, s6
	v_cndmask_b32_e64 v8, v50, 0, s12
	v_mul_f64 v[38:39], v[38:39], s[10:11]
	v_cmp_nlt_f64_e64 s10, 0x40900000, v[22:23]
	v_cmp_ngt_f64_e64 s11, 0xc090cc00, v[22:23]
	v_cndmask_b32_e64 v9, v9, 0x7ff80000, s3
	v_cndmask_b32_e64 v51, 0x7ff00000, v37, s8
	s_and_b32 s8, s9, s8
	v_cndmask_b32_e64 v37, v41, 0x7ff80000, s3
	v_ldexp_f64 v[41:42], v[42:43], v48
	v_cndmask_b32_e32 v10, 0, v52, vcc_lo
	v_cndmask_b32_e32 v11, 0x7ff80000, v49, vcc_lo
	v_mul_f64 v[48:49], v[8:9], s[14:15]
	v_cmp_o_f64_e32 vcc_lo, v[6:7], v[6:7]
	v_cndmask_b32_e64 v6, 0, v36, s8
	v_cmp_nlt_f64_e64 s8, 0x40900000, v[26:27]
	v_cndmask_b32_e64 v7, 0, v51, s9
	v_cmp_ngt_f64_e64 s9, 0xc090cc00, v[26:27]
	v_fma_f64 v[43:44], v[44:45], s[26:27], 1.0
	v_cmp_nlt_f64_e64 s12, 0x40900000, v[32:33]
	v_cmp_nlt_f64_e64 s14, 0x40900000, v[24:25]
	v_cmp_ngt_f64_e64 s15, 0xc090cc00, v[24:25]
	v_mul_f64 v[45:46], v[46:47], v[10:11]
	v_mul_f64 v[50:51], v[2:3], s[24:25]
	;; [unrolled: 1-line block ×3, first 2 shown]
	v_cndmask_b32_e64 v54, 0x7ff00000, v31, s10
	v_mul_f64 v[31:32], v[2:3], s[18:19]
	v_cndmask_b32_e64 v27, 0, v54, s11
	v_mul_f64 v[47:48], v[6:7], v[48:49]
	v_cndmask_b32_e32 v19, 0x7ff80000, v17, vcc_lo
	v_cndmask_b32_e32 v18, 0, v16, vcc_lo
	v_cndmask_b32_e64 v22, 0x7ff00000, v35, s8
	v_mul_f64 v[35:36], v[2:3], s[22:23]
	s_and_b32 vcc_lo, s11, s10
	v_cndmask_b32_e32 v26, 0, v30, vcc_lo
	s_and_b32 vcc_lo, s9, s8
	v_cndmask_b32_e64 v23, 0x7ff00000, v42, s12
	v_cndmask_b32_e64 v33, 0x7ff00000, v44, s14
	v_cndmask_b32_e32 v24, 0, v34, vcc_lo
	s_and_b32 vcc_lo, s13, s12
	v_cndmask_b32_e64 v25, 0, v22, s9
	v_cndmask_b32_e32 v22, 0, v41, vcc_lo
	s_and_b32 vcc_lo, s15, s14
	v_cndmask_b32_e64 v17, 0x3ff00000, v33, s15
	v_cndmask_b32_e64 v23, 0, v23, s13
	v_cndmask_b32_e32 v16, 0, v43, vcc_lo
	v_mul_f64 v[52:53], v[45:46], v[18:19]
	v_mul_f64 v[30:31], v[31:32], v[26:27]
	;; [unrolled: 1-line block ×4, first 2 shown]
	s_cmp_lg_u32 s33, 0
	s_mov_b32 s9, 0
	s_cselect_b32 s18, -1, 0
	v_mul_f64 v[28:29], v[35:36], v[24:25]
	v_mul_f64 v[34:35], v[16:17], v[47:48]
	v_cndmask_b32_e64 v36, v40, 0, s3
	s_cmp_eq_u32 s33, 0
	v_mul_f64 v[44:45], s[20:21], v[52:53]
	v_fma_f64 v[46:47], v[20:21], v[30:31], v[52:53]
	v_mul_f64 v[48:49], v[20:21], v[32:33]
	v_mul_f64 v[42:43], v[20:21], v[28:29]
	v_add_f64 v[50:51], v[36:37], v[34:35]
	s_cbranch_scc1 .LBB0_8
; %bb.2:
	s_mov_b32 s10, 0xd79435e
	s_mov_b32 s11, 0x3fb435e5
	v_mov_b32_e32 v31, s21
	v_mul_f64 v[40:41], s[20:21], s[10:11]
	v_mov_b32_e32 v54, 19
	v_mov_b32_e32 v30, s20
	s_mov_b32 s10, 0x627a63c3
	s_mov_b32 s12, 0x76710975
	;; [unrolled: 1-line block ×8, first 2 shown]
.LBB0_3:                                ; =>This Inner Loop Header: Depth=1
	v_mov_b32_e32 v56, v31
	v_mov_b32_e32 v55, v30
	v_sub_co_u32 v54, s19, v54, 1
	v_div_scale_f64 v[28:29], null, v[55:56], v[55:56], s[10:11]
	v_div_scale_f64 v[34:35], vcc_lo, s[10:11], v[55:56], s[10:11]
	v_div_scale_f64 v[59:60], s8, s[12:13], v[55:56], s[12:13]
	v_rcp_f64_e32 v[30:31], v[28:29]
	v_fma_f64 v[32:33], -v[28:29], v[30:31], 1.0
	v_fma_f64 v[30:31], v[30:31], v[32:33], v[30:31]
	v_fma_f64 v[32:33], -v[28:29], v[30:31], 1.0
	v_fma_f64 v[30:31], v[30:31], v[32:33], v[30:31]
	v_mul_f64 v[32:33], v[34:35], v[30:31]
	v_fma_f64 v[28:29], -v[28:29], v[32:33], v[34:35]
	v_div_fmas_f64 v[28:29], v[28:29], v[30:31], v[32:33]
	v_div_scale_f64 v[32:33], null, v[55:56], v[55:56], s[12:13]
	v_div_fixup_f64 v[28:29], v[28:29], v[55:56], s[10:11]
	v_rcp_f64_e32 v[36:37], v[32:33]
	v_add_f64 v[30:31], v[46:47], v[28:29]
	v_fma_f64 v[57:58], -v[32:33], v[36:37], 1.0
	v_div_scale_f64 v[28:29], null, v[30:31], v[30:31], v[44:45]
	v_div_scale_f64 v[61:62], vcc_lo, v[44:45], v[30:31], v[44:45]
	v_fma_f64 v[36:37], v[36:37], v[57:58], v[36:37]
	v_rcp_f64_e32 v[34:35], v[28:29]
	v_fma_f64 v[57:58], -v[32:33], v[36:37], 1.0
	v_fma_f64 v[52:53], -v[28:29], v[34:35], 1.0
	v_fma_f64 v[36:37], v[36:37], v[57:58], v[36:37]
	v_fma_f64 v[34:35], v[34:35], v[52:53], v[34:35]
	v_mul_f64 v[57:58], v[59:60], v[36:37]
	v_fma_f64 v[52:53], -v[28:29], v[34:35], 1.0
	v_fma_f64 v[32:33], -v[32:33], v[57:58], v[59:60]
	v_fma_f64 v[34:35], v[34:35], v[52:53], v[34:35]
	v_mul_f64 v[52:53], v[61:62], v[34:35]
	v_fma_f64 v[28:29], -v[28:29], v[52:53], v[61:62]
	v_div_fmas_f64 v[34:35], v[28:29], v[34:35], v[52:53]
	s_mov_b32 vcc_lo, s8
	v_div_fmas_f64 v[28:29], v[32:33], v[36:37], v[57:58]
	v_div_scale_f64 v[32:33], null, v[55:56], v[55:56], s[14:15]
	v_div_fixup_f64 v[28:29], v[28:29], v[55:56], s[12:13]
	v_rcp_f64_e32 v[57:58], v[32:33]
	v_add_f64 v[52:53], v[42:43], v[28:29]
	v_fma_f64 v[61:62], -v[32:33], v[57:58], 1.0
	v_div_scale_f64 v[28:29], null, v[52:53], v[52:53], v[50:51]
	v_div_scale_f64 v[63:64], vcc_lo, v[50:51], v[52:53], v[50:51]
	v_fma_f64 v[57:58], v[57:58], v[61:62], v[57:58]
	v_rcp_f64_e32 v[36:37], v[28:29]
	v_fma_f64 v[61:62], -v[32:33], v[57:58], 1.0
	v_fma_f64 v[59:60], -v[28:29], v[36:37], 1.0
	v_fma_f64 v[57:58], v[57:58], v[61:62], v[57:58]
	v_fma_f64 v[36:37], v[36:37], v[59:60], v[36:37]
	v_fma_f64 v[59:60], -v[28:29], v[36:37], 1.0
	v_fma_f64 v[36:37], v[36:37], v[59:60], v[36:37]
	v_div_scale_f64 v[59:60], s8, s[14:15], v[55:56], s[14:15]
	v_mul_f64 v[61:62], v[63:64], v[36:37]
	v_mul_f64 v[65:66], v[59:60], v[57:58]
	v_fma_f64 v[28:29], -v[28:29], v[61:62], v[63:64]
	v_fma_f64 v[32:33], -v[32:33], v[65:66], v[59:60]
	v_div_fmas_f64 v[28:29], v[28:29], v[36:37], v[61:62]
	s_mov_b32 vcc_lo, s8
	v_div_fmas_f64 v[32:33], v[32:33], v[57:58], v[65:66]
	v_div_fixup_f64 v[28:29], v[28:29], v[52:53], v[50:51]
	v_div_fixup_f64 v[32:33], v[32:33], v[55:56], s[14:15]
	v_add_f64 v[28:29], v[28:29], 1.0
	v_add_f64 v[32:33], v[48:49], v[32:33]
	v_div_scale_f64 v[36:37], null, v[38:39], v[38:39], v[32:33]
	v_div_scale_f64 v[61:62], vcc_lo, v[32:33], v[38:39], v[32:33]
	v_rcp_f64_e32 v[57:58], v[36:37]
	v_fma_f64 v[59:60], -v[36:37], v[57:58], 1.0
	v_fma_f64 v[57:58], v[57:58], v[59:60], v[57:58]
	v_fma_f64 v[59:60], -v[36:37], v[57:58], 1.0
	v_fma_f64 v[57:58], v[57:58], v[59:60], v[57:58]
	v_mul_f64 v[59:60], v[61:62], v[57:58]
	v_fma_f64 v[36:37], -v[36:37], v[59:60], v[61:62]
	v_div_fmas_f64 v[36:37], v[36:37], v[57:58], v[59:60]
	v_div_fixup_f64 v[36:37], v[36:37], v[38:39], v[32:33]
	v_add_f64 v[28:29], v[36:37], v[28:29]
	v_div_scale_f64 v[36:37], null, v[28:29], v[28:29], v[40:41]
	v_div_scale_f64 v[61:62], vcc_lo, v[40:41], v[28:29], v[40:41]
	v_rcp_f64_e32 v[57:58], v[36:37]
	v_fma_f64 v[59:60], -v[36:37], v[57:58], 1.0
	v_fma_f64 v[57:58], v[57:58], v[59:60], v[57:58]
	v_fma_f64 v[59:60], -v[36:37], v[57:58], 1.0
	v_fma_f64 v[57:58], v[57:58], v[59:60], v[57:58]
	v_mul_f64 v[59:60], v[61:62], v[57:58]
	v_fma_f64 v[36:37], -v[36:37], v[59:60], v[61:62]
	v_div_fmas_f64 v[36:37], v[36:37], v[57:58], v[59:60]
	v_div_fixup_f64 v[28:29], v[36:37], v[28:29], v[40:41]
	v_mul_f64 v[57:58], v[32:33], v[28:29]
	v_div_scale_f64 v[32:33], null, v[38:39], v[38:39], v[57:58]
	v_div_scale_f64 v[61:62], vcc_lo, v[57:58], v[38:39], v[57:58]
	v_rcp_f64_e32 v[36:37], v[32:33]
	v_fma_f64 v[59:60], -v[32:33], v[36:37], 1.0
	v_fma_f64 v[36:37], v[36:37], v[59:60], v[36:37]
	v_fma_f64 v[59:60], -v[32:33], v[36:37], 1.0
	v_fma_f64 v[59:60], v[36:37], v[59:60], v[36:37]
	v_div_fixup_f64 v[36:37], v[34:35], v[30:31], v[44:45]
	v_mul_f64 v[63:64], v[61:62], v[59:60]
	v_fma_f64 v[30:31], -v[32:33], v[63:64], v[61:62]
	v_add_f64 v[32:33], s[20:21], -v[36:37]
	v_div_fmas_f64 v[30:31], v[30:31], v[59:60], v[63:64]
	v_add_f64 v[59:60], v[32:33], v[28:29]
	v_div_fixup_f64 v[34:35], v[30:31], v[38:39], v[57:58]
	v_fma_f64 v[30:31], v[34:35], 2.0, v[59:60]
	v_add_f64 v[55:56], v[55:56], -v[30:31]
	v_cmp_lt_f64_e64 s8, |v[55:56]|, s[16:17]
	s_or_b32 s8, s8, s19
	s_and_b32 s8, exec_lo, s8
	s_or_b32 s9, s8, s9
	s_andn2_b32 exec_lo, exec_lo, s9
	s_cbranch_execnz .LBB0_3
; %bb.4:
	s_or_b32 exec_lo, exec_lo, s9
	v_mul_f64 v[40:41], v[50:51], v[28:29]
	v_div_scale_f64 v[54:55], null, v[52:53], v[52:53], v[40:41]
	v_rcp_f64_e32 v[56:57], v[54:55]
	v_fma_f64 v[58:59], -v[54:55], v[56:57], 1.0
	v_fma_f64 v[56:57], v[56:57], v[58:59], v[56:57]
	v_fma_f64 v[58:59], -v[54:55], v[56:57], 1.0
	v_fma_f64 v[56:57], v[56:57], v[58:59], v[56:57]
	v_div_scale_f64 v[58:59], vcc_lo, v[40:41], v[52:53], v[40:41]
	v_mul_f64 v[60:61], v[58:59], v[56:57]
	v_fma_f64 v[54:55], -v[54:55], v[60:61], v[58:59]
	v_div_fmas_f64 v[54:55], v[54:55], v[56:57], v[60:61]
	v_div_fixup_f64 v[40:41], v[54:55], v[52:53], v[40:41]
	s_load_dwordx2 s[8:9], s[4:5], 0x18
	s_branch .LBB0_6
.LBB0_5:
	v_div_scale_f64 v[28:29], null, v[46:47], v[46:47], v[44:45]
	v_div_scale_f64 v[30:31], null, v[42:43], v[42:43], v[50:51]
	;; [unrolled: 1-line block ×3, first 2 shown]
	v_div_scale_f64 v[58:59], vcc_lo, v[44:45], v[46:47], v[44:45]
	v_rcp_f64_e32 v[34:35], v[28:29]
	v_rcp_f64_e32 v[36:37], v[30:31]
	;; [unrolled: 1-line block ×3, first 2 shown]
	v_fma_f64 v[52:53], -v[28:29], v[34:35], 1.0
	v_fma_f64 v[54:55], -v[30:31], v[36:37], 1.0
	;; [unrolled: 1-line block ×3, first 2 shown]
	v_fma_f64 v[34:35], v[34:35], v[52:53], v[34:35]
	v_fma_f64 v[36:37], v[36:37], v[54:55], v[36:37]
	;; [unrolled: 1-line block ×3, first 2 shown]
	v_fma_f64 v[52:53], -v[28:29], v[34:35], 1.0
	v_fma_f64 v[54:55], -v[30:31], v[36:37], 1.0
	;; [unrolled: 1-line block ×3, first 2 shown]
	v_fma_f64 v[34:35], v[34:35], v[52:53], v[34:35]
	v_div_scale_f64 v[52:53], s4, v[50:51], v[42:43], v[50:51]
	v_fma_f64 v[36:37], v[36:37], v[54:55], v[36:37]
	v_fma_f64 v[40:41], v[40:41], v[56:57], v[40:41]
	v_div_scale_f64 v[54:55], s5, v[48:49], v[38:39], v[48:49]
	v_mul_f64 v[56:57], v[58:59], v[34:35]
	v_mul_f64 v[60:61], v[52:53], v[36:37]
	;; [unrolled: 1-line block ×3, first 2 shown]
	v_fma_f64 v[28:29], -v[28:29], v[56:57], v[58:59]
	v_fma_f64 v[30:31], -v[30:31], v[60:61], v[52:53]
	;; [unrolled: 1-line block ×3, first 2 shown]
	v_div_fmas_f64 v[34:35], v[28:29], v[34:35], v[56:57]
	s_mov_b32 vcc_lo, s4
	v_div_fmas_f64 v[28:29], v[30:31], v[36:37], v[60:61]
	s_mov_b32 vcc_lo, s5
	s_mov_b32 s4, 0xd79435e
	v_div_fmas_f64 v[30:31], v[32:33], v[40:41], v[62:63]
	s_mov_b32 s5, 0x3fb435e5
	v_mul_f64 v[32:33], s[20:21], s[4:5]
	v_div_fixup_f64 v[28:29], v[28:29], v[42:43], v[50:51]
	v_div_fixup_f64 v[30:31], v[30:31], v[38:39], v[48:49]
	v_add_f64 v[28:29], v[28:29], 1.0
	v_add_f64 v[28:29], v[30:31], v[28:29]
	v_div_scale_f64 v[30:31], null, v[28:29], v[28:29], v[32:33]
	v_div_scale_f64 v[52:53], vcc_lo, v[32:33], v[28:29], v[32:33]
	v_rcp_f64_e32 v[36:37], v[30:31]
	v_fma_f64 v[40:41], -v[30:31], v[36:37], 1.0
	v_fma_f64 v[36:37], v[36:37], v[40:41], v[36:37]
	v_fma_f64 v[40:41], -v[30:31], v[36:37], 1.0
	v_fma_f64 v[36:37], v[36:37], v[40:41], v[36:37]
	v_mul_f64 v[40:41], v[52:53], v[36:37]
	v_fma_f64 v[30:31], -v[30:31], v[40:41], v[52:53]
	v_div_fmas_f64 v[30:31], v[30:31], v[36:37], v[40:41]
	v_div_fixup_f64 v[28:29], v[30:31], v[28:29], v[32:33]
	v_mul_f64 v[30:31], v[50:51], v[28:29]
	v_mul_f64 v[40:41], v[48:49], v[28:29]
	v_div_scale_f64 v[32:33], null, v[42:43], v[42:43], v[30:31]
	v_div_scale_f64 v[36:37], null, v[38:39], v[38:39], v[40:41]
	v_div_scale_f64 v[56:57], vcc_lo, v[30:31], v[42:43], v[30:31]
	v_rcp_f64_e32 v[48:49], v[32:33]
	v_rcp_f64_e32 v[50:51], v[36:37]
	v_fma_f64 v[52:53], -v[32:33], v[48:49], 1.0
	v_fma_f64 v[54:55], -v[36:37], v[50:51], 1.0
	v_fma_f64 v[48:49], v[48:49], v[52:53], v[48:49]
	v_fma_f64 v[50:51], v[50:51], v[54:55], v[50:51]
	v_fma_f64 v[52:53], -v[32:33], v[48:49], 1.0
	v_fma_f64 v[54:55], -v[36:37], v[50:51], 1.0
	v_fma_f64 v[48:49], v[48:49], v[52:53], v[48:49]
	v_div_scale_f64 v[52:53], s4, v[40:41], v[38:39], v[40:41]
	v_fma_f64 v[50:51], v[50:51], v[54:55], v[50:51]
	v_mul_f64 v[54:55], v[56:57], v[48:49]
	v_mul_f64 v[58:59], v[52:53], v[50:51]
	v_fma_f64 v[32:33], -v[32:33], v[54:55], v[56:57]
	v_fma_f64 v[52:53], -v[36:37], v[58:59], v[52:53]
	v_div_fixup_f64 v[36:37], v[34:35], v[46:47], v[44:45]
	v_div_fmas_f64 v[44:45], v[32:33], v[48:49], v[54:55]
	s_mov_b32 vcc_lo, s4
	v_div_fmas_f64 v[34:35], v[52:53], v[50:51], v[58:59]
	v_add_f64 v[32:33], s[20:21], -v[36:37]
	v_div_fixup_f64 v[34:35], v[34:35], v[38:39], v[40:41]
	v_add_f64 v[38:39], v[32:33], v[28:29]
	v_div_fixup_f64 v[40:41], v[44:45], v[42:43], v[30:31]
	v_fma_f64 v[30:31], v[34:35], 2.0, v[38:39]
.LBB0_6:
	s_andn2_b32 vcc_lo, exec_lo, s18
	s_cbranch_vccnz .LBB0_9
; %bb.7:
	s_mov_b32 s4, 0x36d36238
	s_mov_b32 s5, 0x3b07fb31
	v_mul_f64 v[38:39], v[36:37], s[4:5]
	s_mov_b32 s4, 0x3029af8
	s_mov_b32 s5, 0x3b20972b
	v_fma_f64 v[38:39], v[40:41], s[4:5], v[38:39]
	s_mov_b32 s4, 0xafda58c5
	s_mov_b32 s5, 0x3ae80eae
	v_fma_f64 v[38:39], v[28:29], s[4:5], v[38:39]
	s_branch .LBB0_10
.LBB0_8:
                                        ; implicit-def: $vgpr36_vgpr37
                                        ; implicit-def: $vgpr32_vgpr33
                                        ; implicit-def: $vgpr40_vgpr41
                                        ; implicit-def: $vgpr28_vgpr29
                                        ; implicit-def: $vgpr34_vgpr35
                                        ; implicit-def: $vgpr30_vgpr31
	s_load_dwordx2 s[8:9], s[4:5], 0x18
	s_cbranch_execnz .LBB0_5
	s_branch .LBB0_6
.LBB0_9:
	v_mov_b32_e32 v38, 0
	v_mov_b32_e32 v39, 0
.LBB0_10:
	v_frexp_mant_f64_e32 v[42:43], v[4:5]
	s_mov_b32 s5, 0x3fe55555
	s_mov_b32 s4, 0x55555555
	;; [unrolled: 1-line block ×21, first 2 shown]
	v_cmp_gt_f64_e32 vcc_lo, s[4:5], v[42:43]
	s_mov_b32 s4, 0x55555780
	s_mov_b32 s23, 0x3f811111
	s_mov_b32 s20, 0x555502a1
	s_mov_b32 s21, 0x3fa55555
	s_mov_b32 s18, 0x55555511
	s_mov_b32 s19, 0x3fc55555
	s_mov_b32 s14, 11
	s_mov_b32 s15, 0x3fe00000
	v_cndmask_b32_e64 v44, 0, 1, vcc_lo
	v_subrev_co_ci_u32_e64 v56, null, 0, v68, vcc_lo
	v_div_scale_f64 v[67:68], null, v[4:5], v[4:5], 0xc0fce4c0
	v_ldexp_f64 v[42:43], v[42:43], v44
	v_rcp_f64_e32 v[71:72], v[67:68]
	v_add_f64 v[44:45], v[42:43], 1.0
	v_add_f64 v[50:51], v[42:43], -1.0
	v_rcp_f64_e32 v[46:47], v[44:45]
	v_add_f64 v[52:53], v[44:45], -1.0
	v_add_f64 v[42:43], v[42:43], -v[52:53]
	v_fma_f64 v[48:49], -v[44:45], v[46:47], 1.0
	v_fma_f64 v[46:47], v[48:49], v[46:47], v[46:47]
	v_fma_f64 v[48:49], -v[44:45], v[46:47], 1.0
	v_fma_f64 v[46:47], v[48:49], v[46:47], v[46:47]
	v_mul_f64 v[48:49], v[50:51], v[46:47]
	v_mul_f64 v[54:55], v[44:45], v[48:49]
	v_fma_f64 v[44:45], v[48:49], v[44:45], -v[54:55]
	v_fma_f64 v[42:43], v[48:49], v[42:43], v[44:45]
	v_add_f64 v[44:45], v[54:55], v[42:43]
	v_add_f64 v[52:53], v[50:51], -v[44:45]
	v_add_f64 v[54:55], v[44:45], -v[54:55]
	;; [unrolled: 1-line block ×5, first 2 shown]
	v_add_f64 v[42:43], v[42:43], v[44:45]
	v_add_f64 v[42:43], v[52:53], v[42:43]
	v_mul_f64 v[42:43], v[46:47], v[42:43]
	v_add_f64 v[44:45], v[48:49], v[42:43]
	v_mul_f64 v[46:47], v[44:45], v[44:45]
	v_fma_f64 v[50:51], v[46:47], s[12:13], s[10:11]
	s_mov_b32 s10, 0xd7f4df2e
	s_mov_b32 s11, 0x3fc7474d
	v_mul_f64 v[52:53], v[44:45], v[46:47]
	s_mov_b32 s13, 0x3c7abc9e
	s_mov_b32 s12, 0x3b39803f
	v_fma_f64 v[50:51], v[46:47], v[50:51], s[10:11]
	s_mov_b32 s10, 0x16291751
	s_mov_b32 s11, 0x3fcc71c0
	v_fma_f64 v[50:51], v[46:47], v[50:51], s[10:11]
	;; [unrolled: 3-line block ×5, first 2 shown]
	v_ldexp_f64 v[50:51], v[44:45], 1
	v_add_f64 v[44:45], v[44:45], -v[48:49]
	s_or_b32 s4, s1, s2
	v_mul_f64 v[46:47], v[52:53], v[46:47]
	v_cvt_f64_i32_e32 v[52:53], v56
	v_add_f64 v[42:43], v[42:43], -v[44:45]
	v_add_f64 v[48:49], v[50:51], v[46:47]
	v_mul_f64 v[54:55], v[52:53], s[10:11]
	v_ldexp_f64 v[42:43], v[42:43], 1
	v_add_f64 v[44:45], v[48:49], -v[50:51]
	v_fma_f64 v[50:51], v[52:53], s[10:11], -v[54:55]
	s_mov_b32 s11, 0xbfe62e42
	v_add_f64 v[44:45], v[46:47], -v[44:45]
	v_fma_f64 v[46:47], v[52:53], s[12:13], v[50:51]
	s_mov_b32 s13, 0xbc7abc9e
	v_add_f64 v[42:43], v[42:43], v[44:45]
	v_add_f64 v[44:45], v[54:55], v[46:47]
	;; [unrolled: 1-line block ×3, first 2 shown]
	v_add_f64 v[54:55], v[44:45], -v[54:55]
	v_add_f64 v[52:53], v[44:45], v[50:51]
	v_add_f64 v[48:49], v[50:51], -v[48:49]
	v_add_f64 v[46:47], v[46:47], -v[54:55]
	;; [unrolled: 1-line block ×6, first 2 shown]
	v_add_f64 v[50:51], v[46:47], v[42:43]
	v_add_f64 v[44:45], v[44:45], -v[58:59]
	v_div_scale_f64 v[57:58], null, v[4:5], v[4:5], 0xc11ce898
	v_add_f64 v[44:45], v[48:49], v[44:45]
	v_add_f64 v[48:49], v[50:51], -v[46:47]
	v_rcp_f64_e32 v[63:64], v[57:58]
	v_add_f64 v[44:45], v[50:51], v[44:45]
	v_add_f64 v[50:51], v[50:51], -v[48:49]
	v_add_f64 v[42:43], v[42:43], -v[48:49]
	v_add_f64 v[54:55], v[52:53], v[44:45]
	v_add_f64 v[46:47], v[46:47], -v[50:51]
	v_add_f64 v[48:49], v[54:55], -v[52:53]
	v_add_f64 v[42:43], v[42:43], v[46:47]
	v_add_f64 v[44:45], v[44:45], -v[48:49]
	v_add_f64 v[42:43], v[42:43], v[44:45]
	v_mov_b32_e32 v44, 0x3ff00000
	v_cndmask_b32_e64 v45, 0xb020c49c, 0, s0
	v_cndmask_b32_e64 v46, 0xbfd96872, v44, s0
	v_mul_f64 v[49:50], v[45:46], v[12:13]
	v_add_f64 v[42:43], v[54:55], v[42:43]
	v_fma_f64 v[53:54], v[45:46], v[12:13], -v[49:50]
	v_cmp_class_f64_e64 vcc_lo, v[49:50], 0x204
	v_cndmask_b32_e64 v43, v43, v5, s7
	v_cndmask_b32_e64 v42, v42, v4, s7
	v_add_f64 v[42:43], 0x40160000, -v[42:43]
	v_fma_f64 v[53:54], v[45:46], v[14:15], v[53:54]
	v_cndmask_b32_e64 v43, v43, 0x7ff80000, s2
	v_cndmask_b32_e64 v42, v42, 0, s4
	;; [unrolled: 1-line block ×3, first 2 shown]
	v_mul_f64 v[42:43], v[42:43], v[42:43]
	v_div_scale_f64 v[47:48], null, 0xc0080000, 0xc0080000, v[42:43]
	v_rcp_f64_e32 v[51:52], v[47:48]
	v_fma_f64 v[55:56], -v[47:48], v[51:52], 1.0
	v_fma_f64 v[51:52], v[51:52], v[55:56], v[51:52]
	v_add_f64 v[55:56], v[49:50], v[53:54]
	v_fma_f64 v[59:60], -v[47:48], v[51:52], 1.0
	v_cndmask_b32_e32 v62, v56, v50, vcc_lo
	v_cndmask_b32_e32 v61, v55, v49, vcc_lo
	v_div_scale_f64 v[69:70], vcc_lo, v[42:43], 0xc0080000, v[42:43]
	v_add_f64 v[49:50], v[55:56], -v[49:50]
	v_mul_f64 v[65:66], v[61:62], s[16:17]
	v_fma_f64 v[51:52], v[51:52], v[59:60], v[51:52]
	v_fma_f64 v[59:60], -v[57:58], v[63:64], 1.0
	v_add_f64 v[49:50], v[53:54], -v[49:50]
	v_rndne_f64_e32 v[65:66], v[65:66]
	v_mul_f64 v[73:74], v[69:70], v[51:52]
	v_fma_f64 v[59:60], v[63:64], v[59:60], v[63:64]
	v_fma_f64 v[63:64], v[65:66], s[10:11], v[61:62]
	v_fma_f64 v[47:48], -v[47:48], v[73:74], v[69:70]
	v_fma_f64 v[69:70], -v[67:68], v[71:72], 1.0
	v_fma_f64 v[63:64], v[65:66], s[12:13], v[63:64]
	v_div_fmas_f64 v[47:48], v[47:48], v[51:52], v[73:74]
	v_fma_f64 v[69:70], v[71:72], v[69:70], v[71:72]
	v_fma_f64 v[71:72], -v[57:58], v[59:60], 1.0
	v_fma_f64 v[51:52], v[63:64], s[26:27], s[24:25]
	v_fma_f64 v[73:74], -v[67:68], v[69:70], 1.0
	v_fma_f64 v[59:60], v[59:60], v[71:72], v[59:60]
	v_div_scale_f64 v[71:72], vcc_lo, 0xc11ce898, v[4:5], 0xc11ce898
	v_fma_f64 v[51:52], v[63:64], v[51:52], s[28:29]
	v_fma_f64 v[69:70], v[69:70], v[73:74], v[69:70]
	v_mul_f64 v[73:74], v[71:72], v[59:60]
	v_fma_f64 v[51:52], v[63:64], v[51:52], s[34:35]
	v_fma_f64 v[57:58], -v[57:58], v[73:74], v[71:72]
	v_div_scale_f64 v[71:72], s4, 0xc0fce4c0, v[4:5], 0xc0fce4c0
	v_fma_f64 v[51:52], v[63:64], v[51:52], s[36:37]
	v_div_fmas_f64 v[57:58], v[57:58], v[59:60], v[73:74]
	v_mul_f64 v[59:60], v[71:72], v[69:70]
	s_mov_b32 vcc_lo, s4
	v_cmp_ngt_f64_e64 s4, 0xc090cc00, v[61:62]
	v_fma_f64 v[51:52], v[63:64], v[51:52], s[30:31]
	v_div_fixup_f64 v[57:58], v[57:58], v[4:5], 0xc11ce898
	v_fma_f64 v[67:68], -v[67:68], v[59:60], v[71:72]
	v_fma_f64 v[51:52], v[63:64], v[51:52], s[22:23]
	v_div_fmas_f64 v[59:60], v[67:68], v[69:70], v[59:60]
	v_mul_f64 v[67:68], v[57:58], s[16:17]
	v_cmp_neq_f64_e64 vcc_lo, 0x7ff00000, |v[61:62]|
	v_fma_f64 v[51:52], v[63:64], v[51:52], s[20:21]
	v_div_fixup_f64 v[59:60], v[59:60], v[4:5], 0xc0fce4c0
	v_rndne_f64_e32 v[67:68], v[67:68]
	v_cvt_i32_f64_e32 v4, v[65:66]
	v_fma_f64 v[51:52], v[63:64], v[51:52], s[18:19]
	v_cndmask_b32_e32 v50, 0, v50, vcc_lo
	v_cndmask_b32_e32 v49, 0, v49, vcc_lo
	v_mul_f64 v[69:70], v[59:60], s[16:17]
	v_fma_f64 v[71:72], v[67:68], s[10:11], v[57:58]
	v_fma_f64 v[51:52], v[63:64], v[51:52], s[14:15]
	v_rndne_f64_e32 v[69:70], v[69:70]
	v_fma_f64 v[71:72], v[67:68], s[12:13], v[71:72]
	v_fma_f64 v[51:52], v[63:64], v[51:52], 1.0
	v_fma_f64 v[65:66], v[69:70], s[10:11], v[59:60]
	v_fma_f64 v[73:74], v[71:72], s[26:27], s[24:25]
	v_fma_f64 v[51:52], v[63:64], v[51:52], 1.0
	v_cndmask_b32_e64 v63, 0xab367a10, 0, s0
	v_cndmask_b32_e64 v64, 0x3fd7573e, v44, s0
	v_cmp_nlt_f64_e64 s0, 0x40900000, v[61:62]
	v_mul_f64 v[61:62], v[45:46], 0.5
	v_mul_f64 v[55:56], v[63:64], v[12:13]
	v_fma_f64 v[65:66], v[69:70], s[12:13], v[65:66]
	v_fma_f64 v[73:74], v[71:72], v[73:74], s[28:29]
	v_ldexp_f64 v[51:52], v[51:52], v4
	s_and_b32 vcc_lo, s4, s0
	v_fma_f64 v[12:13], v[63:64], v[12:13], -v[55:56]
	v_fma_f64 v[53:54], v[65:66], s[26:27], s[24:25]
	v_fma_f64 v[73:74], v[71:72], v[73:74], s[34:35]
	v_cndmask_b32_e64 v4, 0x7ff00000, v52, s0
	v_cndmask_b32_e32 v75, 0, v51, vcc_lo
	v_cmp_class_f64_e64 s0, v[55:56], 0x204
	v_cndmask_b32_e64 v76, 0, v4, s4
	v_fma_f64 v[14:15], v[63:64], v[14:15], v[12:13]
	v_fma_f64 v[49:50], v[75:76], v[49:50], v[75:76]
	v_cmp_class_f64_e64 s4, v[75:76], 0x204
	v_fma_f64 v[12:13], v[65:66], v[53:54], s[28:29]
	v_fma_f64 v[52:53], v[71:72], v[73:74], s[36:37]
	v_trunc_f64_e32 v[73:74], v[61:62]
	v_cndmask_b32_e64 v4, v49, v75, s4
	v_cndmask_b32_e64 v50, v50, v76, s4
	v_fma_f64 v[12:13], v[65:66], v[12:13], s[34:35]
	v_fma_f64 v[51:52], v[71:72], v[52:53], s[30:31]
	v_trunc_f64_e32 v[53:54], v[45:46]
	v_cmp_neq_f64_e32 vcc_lo, v[73:74], v[61:62]
	v_add_f64 v[61:62], v[55:56], v[14:15]
	v_fma_f64 v[12:13], v[65:66], v[12:13], s[36:37]
	v_fma_f64 v[51:52], v[71:72], v[51:52], s[22:23]
	v_cmp_eq_f64_e64 s5, v[53:54], v[45:46]
	v_cndmask_b32_e64 v54, v62, v56, s0
	v_cndmask_b32_e64 v53, v61, v55, s0
	v_cmp_gt_f64_e64 s0, 0, v[45:46]
	v_add_f64 v[55:56], v[61:62], -v[55:56]
	v_mul_f64 v[44:45], v[53:54], s[16:17]
	v_fma_f64 v[12:13], v[65:66], v[12:13], s[30:31]
	v_fma_f64 v[51:52], v[71:72], v[51:52], s[20:21]
	s_and_b32 vcc_lo, s5, vcc_lo
	s_xor_b32 s0, s1, s0
	v_add_f64 v[14:15], v[14:15], -v[55:56]
	v_rndne_f64_e32 v[44:45], v[44:45]
	v_fma_f64 v[73:74], v[65:66], v[12:13], s[22:23]
	v_div_fixup_f64 v[12:13], v[47:48], 0xc0080000, v[42:43]
	v_fma_f64 v[51:52], v[71:72], v[51:52], s[18:19]
	v_fma_f64 v[42:43], v[44:45], s[10:11], v[53:54]
	;; [unrolled: 1-line block ×3, first 2 shown]
	v_cvt_i32_f64_e32 v73, v[69:70]
	v_fma_f64 v[48:49], v[71:72], v[51:52], s[14:15]
	v_mul_f64 v[69:70], v[12:13], s[16:17]
	v_cndmask_b32_e32 v74, 0x3ff00000, v5, vcc_lo
	v_bfi_b32 v74, 0x7fffffff, v50, v74
	v_fma_f64 v[42:43], v[44:45], s[12:13], v[42:43]
	v_cndmask_b32_e64 v75, 0x7ff80000, v74, s5
	v_fma_f64 v[46:47], v[65:66], v[46:47], s[18:19]
	v_fma_f64 v[48:49], v[71:72], v[48:49], 1.0
	v_rndne_f64_e32 v[69:70], v[69:70]
	v_fma_f64 v[51:52], v[42:43], s[26:27], s[24:25]
	v_fma_f64 v[46:47], v[65:66], v[46:47], s[14:15]
	v_fma_f64 v[48:49], v[71:72], v[48:49], 1.0
	v_cvt_i32_f64_e32 v71, v[67:68]
	v_cndmask_b32_e64 v72, 0, v4, s5
	s_mov_b32 s4, 0xd340d1f4
	s_mov_b32 s5, 0x3c8fef98
	v_cndmask_b32_e64 v4, v4, v72, s2
	v_fma_f64 v[51:52], v[42:43], v[51:52], s[28:29]
	v_cndmask_b32_e64 v72, v74, v75, s2
	v_fma_f64 v[46:47], v[65:66], v[46:47], 1.0
	v_ldexp_f64 v[48:49], v[48:49], v71
	v_cndmask_b32_e64 v71, 0x7ff00000, 0, s0
	v_cmp_ngt_f64_e64 s0, 0xc090cc00, v[57:58]
	v_fma_f64 v[51:52], v[42:43], v[51:52], s[34:35]
	v_fma_f64 v[46:47], v[65:66], v[46:47], 1.0
	v_fma_f64 v[65:66], v[69:70], s[10:11], v[12:13]
	s_mov_b32 s10, 0xbabb6581
	s_mov_b32 s11, 0x3c2bab8c
	v_fma_f64 v[51:52], v[42:43], v[51:52], s[36:37]
	v_ldexp_f64 v[46:47], v[46:47], v73
	v_fma_f64 v[65:66], v[69:70], s[12:13], v[65:66]
	v_cndmask_b32_e32 v73, 0, v5, vcc_lo
	v_cmp_nlt_f64_e32 vcc_lo, 0x40900000, v[57:58]
	v_fma_f64 v[51:52], v[42:43], v[51:52], s[30:31]
	v_mul_f64 v[46:47], v[46:47], s[10:11]
	v_fma_f64 v[67:68], v[65:66], s[26:27], s[24:25]
	s_mov_b32 s10, 0xd9928ced
	s_mov_b32 s11, 0x3b97fd57
	v_fma_f64 v[51:52], v[42:43], v[51:52], s[22:23]
	v_fma_f64 v[67:68], v[65:66], v[67:68], s[28:29]
	;; [unrolled: 1-line block ×8, first 2 shown]
	v_fma_f64 v[50:51], v[42:43], v[51:52], 1.0
	v_bfi_b32 v52, 0x7fffffff, v71, v73
	v_cndmask_b32_e64 v71, v4, 0, s6
	v_cndmask_b32_e32 v4, 0x7ff00000, v49, vcc_lo
	s_and_b32 vcc_lo, s0, vcc_lo
	v_cndmask_b32_e64 v72, v72, v52, s6
	v_cndmask_b32_e32 v57, 0, v48, vcc_lo
	v_cndmask_b32_e64 v58, 0, v4, s0
	v_cmp_nlt_f64_e64 s0, 0x40900000, v[53:54]
	v_mul_f64 v[71:72], v[71:72], s[4:5]
	v_cmp_nlt_f64_e64 s4, 0x40900000, v[59:60]
	v_cmp_ngt_f64_e64 s5, 0xc090cc00, v[59:60]
	v_fma_f64 v[67:68], v[65:66], v[67:68], s[22:23]
	v_cvt_i32_f64_e32 v59, v[44:45]
	v_mul_f64 v[44:45], v[2:3], s[10:11]
	s_mov_b32 s10, 0xa38e75eb
	s_mov_b32 s11, 0x3b82b358
	v_fma_f64 v[42:43], v[42:43], v[50:51], 1.0
	v_cndmask_b32_e64 v50, v72, 0x7ff80000, s3
	v_cndmask_b32_e64 v47, 0x7ff00000, v47, s4
	s_and_b32 vcc_lo, s5, s4
	v_cndmask_b32_e64 v49, v71, 0, s3
	v_fma_f64 v[51:52], v[65:66], v[67:68], s[20:21]
	v_cndmask_b32_e32 v46, 0, v46, vcc_lo
	v_cndmask_b32_e64 v47, 0, v47, s5
	v_mul_f64 v[26:27], v[44:45], v[26:27]
	v_mul_f64 v[48:49], v[57:58], v[49:50]
	s_mov_b32 s4, 0xc1c0e6ac
	s_mov_b32 s5, 0x3b91b7e3
	v_mul_f64 v[46:47], v[20:21], v[46:47]
	v_ldexp_f64 v[42:43], v[42:43], v59
	v_mul_f64 v[57:58], v[2:3], s[4:5]
	v_cmp_neq_f64_e64 vcc_lo, 0x7ff00000, |v[53:54]|
	v_cmp_ngt_f64_e64 s4, 0xc090cc00, v[53:54]
	v_fma_f64 v[44:45], v[65:66], v[51:52], s[18:19]
	v_mul_f64 v[50:51], v[63:64], 0.5
	v_mul_f64 v[52:53], v[2:3], s[10:11]
	v_mul_f64 v[26:27], v[20:21], v[26:27]
	v_mul_f64 v[48:49], v[20:21], v[48:49]
	s_mov_b32 s11, 0x3a858a47
	s_mov_b32 s10, 0xb55aa151
	v_mul_f64 v[46:47], v[46:47], v[30:31]
	v_cndmask_b32_e64 v4, 0x7ff00000, v43, s0
	v_mul_f64 v[24:25], v[57:58], v[24:25]
	v_trunc_f64_e32 v[58:59], v[63:64]
	v_cndmask_b32_e32 v15, 0, v15, vcc_lo
	v_cndmask_b32_e32 v14, 0, v14, vcc_lo
	s_and_b32 vcc_lo, s4, s0
	v_mul_f64 v[60:61], v[2:3], s[10:11]
	v_cndmask_b32_e32 v54, 0, v42, vcc_lo
	v_cndmask_b32_e64 v55, 0, v4, s4
	v_cvt_i32_f64_e32 v4, v[69:70]
	s_mov_b32 s11, 0x3aa58a47
	v_fma_f64 v[14:15], v[54:55], v[14:15], v[54:55]
	v_fma_f64 v[43:44], v[65:66], v[44:45], s[14:15]
	v_trunc_f64_e32 v[56:57], v[50:51]
	v_mul_f64 v[22:23], v[52:53], v[22:23]
	v_mul_f64 v[26:27], v[26:27], v[30:31]
	;; [unrolled: 1-line block ×3, first 2 shown]
	v_cmp_class_f64_e64 s0, v[54:55], 0x204
	v_mul_f64 v[45:46], v[46:47], v[36:37]
	v_mul_f64 v[24:25], v[20:21], v[24:25]
	v_cmp_eq_f64_e64 s4, v[58:59], v[63:64]
	v_fma_f64 v[42:43], v[65:66], v[43:44], 1.0
	v_cmp_neq_f64_e32 vcc_lo, v[56:57], v[50:51]
	v_mul_f64 v[20:21], v[20:21], v[22:23]
	v_fma_f64 v[44:45], v[48:49], v[28:29], v[45:46]
	v_mul_f64 v[46:47], v[60:61], v[10:11]
	v_mul_f64 v[22:23], v[24:25], v[30:31]
	v_cndmask_b32_e64 v48, v14, v54, s0
	v_cndmask_b32_e64 v14, v15, v55, s0
	v_fma_f64 v[42:43], v[65:66], v[42:43], 1.0
	s_and_b32 vcc_lo, s4, vcc_lo
	v_mul_f64 v[20:21], v[20:21], v[30:31]
	v_fma_f64 v[24:25], v[26:27], v[36:37], v[44:45]
	v_cndmask_b32_e32 v37, 0, v5, vcc_lo
	v_cndmask_b32_e32 v5, 0x3ff00000, v5, vcc_lo
	v_mul_f64 v[26:27], v[46:47], v[18:19]
	v_cndmask_b32_e64 v36, 0, v48, s4
	v_cmp_nlt_f64_e32 vcc_lo, 0x40900000, v[12:13]
	v_bfi_b32 v44, 0x7fffffff, v14, v5
	v_mul_f64 v[14:15], v[2:3], s[10:11]
	v_ldexp_f64 v[4:5], v[42:43], v4
	v_cndmask_b32_e64 v42, 0x7ff00000, 0, s1
	v_cndmask_b32_e64 v43, 0x7ff80000, v44, s4
	s_mov_b32 s0, 0x653aaa2f
	s_mov_b32 s4, 0x9999999a
	;; [unrolled: 1-line block ×4, first 2 shown]
	v_fma_f64 v[22:23], v[22:23], v[40:41], v[24:25]
	v_cndmask_b32_e64 v24, v48, v36, s2
	v_bfi_b32 v25, 0x7fffffff, v42, v37
	v_cndmask_b32_e64 v36, v44, v43, s2
	v_cndmask_b32_e64 v24, v24, 0, s6
	;; [unrolled: 1-line block ×3, first 2 shown]
	s_mov_b32 s6, 0x5c28f5c3
	s_mov_b32 s7, 0x3fd5c28f
	v_mul_f64 v[10:11], v[14:15], v[10:11]
	v_mul_f64 v[14:15], v[26:27], v[30:31]
	v_mul_f64 v[24:25], v[24:25], s[0:1]
	s_mov_b32 s0, 0x21f01b65
	v_fma_f64 v[4:5], v[4:5], s[6:7], s[4:5]
	s_mov_b32 s1, 0x3d417392
	v_mul_f64 v[8:9], v[8:9], s[0:1]
	s_mov_b32 s0, 0x6280eee3
	s_mov_b32 s1, 0x3a5c2041
	v_fma_f64 v[20:21], v[20:21], v[28:29], v[22:23]
	v_cndmask_b32_e64 v23, v25, 0x7ff80000, s3
	v_cndmask_b32_e64 v22, v24, 0, s3
	v_mul_f64 v[4:5], v[4:5], s[0:1]
	v_mul_f64 v[6:7], v[6:7], v[8:9]
	;; [unrolled: 1-line block ×4, first 2 shown]
	v_fma_f64 v[14:15], v[14:15], v[32:33], v[20:21]
	v_cndmask_b32_e32 v18, 0, v4, vcc_lo
	v_cndmask_b32_e32 v19, 0x7ff00000, v5, vcc_lo
	v_cmp_ngt_f64_e32 vcc_lo, 0xc090cc00, v[12:13]
	v_add_f64 v[4:5], v[28:29], v[32:33]
	v_mul_f64 v[6:7], v[16:17], v[6:7]
	v_mul_f64 v[8:9], v[8:9], v[30:31]
	v_fma_f64 v[10:11], v[10:11], v[28:29], v[14:15]
	v_cndmask_b32_e32 v13, 0x3a5ef047, v19, vcc_lo
	v_cndmask_b32_e32 v12, 0xec5aa061, v18, vcc_lo
	v_fma_f64 v[4:5], v[34:35], 4.0, v[4:5]
	v_mul_f64 v[6:7], v[6:7], v[30:31]
	s_waitcnt lgkmcnt(0)
	v_add_co_u32 v0, vcc_lo, s8, v0
	v_fma_f64 v[8:9], v[8:9], v[34:35], v[10:11]
	v_mul_f64 v[2:3], v[2:3], v[12:13]
	v_add_co_ci_u32_e64 v1, null, s9, v1, vcc_lo
	v_fma_f64 v[6:7], v[6:7], v[28:29], v[8:9]
	v_mul_f64 v[2:3], v[2:3], v[4:5]
	v_fma_f64 v[2:3], v[30:31], v[2:3], v[6:7]
	v_add_f64 v[2:3], v[2:3], -v[38:39]
	global_store_dwordx2 v[0:1], v[2:3], off
.LBB0_11:
	s_endpgm
	.section	.rodata,"a",@progbits
	.p2align	6, 0x0
	.amdhsa_kernel _Z11cool_kernelidPKdPdi
		.amdhsa_group_segment_fixed_size 0
		.amdhsa_private_segment_fixed_size 0
		.amdhsa_kernarg_size 296
		.amdhsa_user_sgpr_count 6
		.amdhsa_user_sgpr_private_segment_buffer 1
		.amdhsa_user_sgpr_dispatch_ptr 0
		.amdhsa_user_sgpr_queue_ptr 0
		.amdhsa_user_sgpr_kernarg_segment_ptr 1
		.amdhsa_user_sgpr_dispatch_id 0
		.amdhsa_user_sgpr_flat_scratch_init 0
		.amdhsa_user_sgpr_private_segment_size 0
		.amdhsa_wavefront_size32 1
		.amdhsa_uses_dynamic_stack 0
		.amdhsa_system_sgpr_private_segment_wavefront_offset 0
		.amdhsa_system_sgpr_workgroup_id_x 1
		.amdhsa_system_sgpr_workgroup_id_y 0
		.amdhsa_system_sgpr_workgroup_id_z 0
		.amdhsa_system_sgpr_workgroup_info 0
		.amdhsa_system_vgpr_workitem_id 0
		.amdhsa_next_free_vgpr 81
		.amdhsa_next_free_sgpr 60
		.amdhsa_reserve_vcc 1
		.amdhsa_reserve_flat_scratch 0
		.amdhsa_float_round_mode_32 0
		.amdhsa_float_round_mode_16_64 0
		.amdhsa_float_denorm_mode_32 3
		.amdhsa_float_denorm_mode_16_64 3
		.amdhsa_dx10_clamp 1
		.amdhsa_ieee_mode 1
		.amdhsa_fp16_overflow 0
		.amdhsa_workgroup_processor_mode 1
		.amdhsa_memory_ordered 1
		.amdhsa_forward_progress 1
		.amdhsa_shared_vgpr_count 0
		.amdhsa_exception_fp_ieee_invalid_op 0
		.amdhsa_exception_fp_denorm_src 0
		.amdhsa_exception_fp_ieee_div_zero 0
		.amdhsa_exception_fp_ieee_overflow 0
		.amdhsa_exception_fp_ieee_underflow 0
		.amdhsa_exception_fp_ieee_inexact 0
		.amdhsa_exception_int_div_zero 0
	.end_amdhsa_kernel
	.text
.Lfunc_end0:
	.size	_Z11cool_kernelidPKdPdi, .Lfunc_end0-_Z11cool_kernelidPKdPdi
                                        ; -- End function
	.set _Z11cool_kernelidPKdPdi.num_vgpr, 81
	.set _Z11cool_kernelidPKdPdi.num_agpr, 0
	.set _Z11cool_kernelidPKdPdi.numbered_sgpr, 60
	.set _Z11cool_kernelidPKdPdi.num_named_barrier, 0
	.set _Z11cool_kernelidPKdPdi.private_seg_size, 0
	.set _Z11cool_kernelidPKdPdi.uses_vcc, 1
	.set _Z11cool_kernelidPKdPdi.uses_flat_scratch, 0
	.set _Z11cool_kernelidPKdPdi.has_dyn_sized_stack, 0
	.set _Z11cool_kernelidPKdPdi.has_recursion, 0
	.set _Z11cool_kernelidPKdPdi.has_indirect_call, 0
	.section	.AMDGPU.csdata,"",@progbits
; Kernel info:
; codeLenInByte = 13020
; TotalNumSgprs: 62
; NumVgprs: 81
; ScratchSize: 0
; MemoryBound: 0
; FloatMode: 240
; IeeeMode: 1
; LDSByteSize: 0 bytes/workgroup (compile time only)
; SGPRBlocks: 0
; VGPRBlocks: 10
; NumSGPRsForWavesPerEU: 62
; NumVGPRsForWavesPerEU: 81
; Occupancy: 10
; WaveLimiterHint : 0
; COMPUTE_PGM_RSRC2:SCRATCH_EN: 0
; COMPUTE_PGM_RSRC2:USER_SGPR: 6
; COMPUTE_PGM_RSRC2:TRAP_HANDLER: 0
; COMPUTE_PGM_RSRC2:TGID_X_EN: 1
; COMPUTE_PGM_RSRC2:TGID_Y_EN: 0
; COMPUTE_PGM_RSRC2:TGID_Z_EN: 0
; COMPUTE_PGM_RSRC2:TIDIG_COMP_CNT: 0
	.text
	.p2alignl 6, 3214868480
	.fill 48, 4, 3214868480
	.section	.AMDGPU.gpr_maximums,"",@progbits
	.set amdgpu.max_num_vgpr, 0
	.set amdgpu.max_num_agpr, 0
	.set amdgpu.max_num_sgpr, 0
	.text
	.type	__hip_cuid_a92edbeb9e3df50,@object ; @__hip_cuid_a92edbeb9e3df50
	.section	.bss,"aw",@nobits
	.globl	__hip_cuid_a92edbeb9e3df50
__hip_cuid_a92edbeb9e3df50:
	.byte	0                               ; 0x0
	.size	__hip_cuid_a92edbeb9e3df50, 1

	.ident	"AMD clang version 22.0.0git (https://github.com/RadeonOpenCompute/llvm-project roc-7.2.4 26084 f58b06dce1f9c15707c5f808fd002e18c2accf7e)"
	.section	".note.GNU-stack","",@progbits
	.addrsig
	.addrsig_sym __hip_cuid_a92edbeb9e3df50
	.amdgpu_metadata
---
amdhsa.kernels:
  - .args:
      - .offset:         0
        .size:           4
        .value_kind:     by_value
      - .offset:         8
        .size:           8
        .value_kind:     by_value
      - .actual_access:  read_only
        .address_space:  global
        .offset:         16
        .size:           8
        .value_kind:     global_buffer
      - .actual_access:  write_only
        .address_space:  global
        .offset:         24
        .size:           8
        .value_kind:     global_buffer
      - .offset:         32
        .size:           4
        .value_kind:     by_value
      - .offset:         40
        .size:           4
        .value_kind:     hidden_block_count_x
      - .offset:         44
        .size:           4
        .value_kind:     hidden_block_count_y
      - .offset:         48
        .size:           4
        .value_kind:     hidden_block_count_z
      - .offset:         52
        .size:           2
        .value_kind:     hidden_group_size_x
      - .offset:         54
        .size:           2
        .value_kind:     hidden_group_size_y
      - .offset:         56
        .size:           2
        .value_kind:     hidden_group_size_z
      - .offset:         58
        .size:           2
        .value_kind:     hidden_remainder_x
      - .offset:         60
        .size:           2
        .value_kind:     hidden_remainder_y
      - .offset:         62
        .size:           2
        .value_kind:     hidden_remainder_z
      - .offset:         80
        .size:           8
        .value_kind:     hidden_global_offset_x
      - .offset:         88
        .size:           8
        .value_kind:     hidden_global_offset_y
      - .offset:         96
        .size:           8
        .value_kind:     hidden_global_offset_z
      - .offset:         104
        .size:           2
        .value_kind:     hidden_grid_dims
    .group_segment_fixed_size: 0
    .kernarg_segment_align: 8
    .kernarg_segment_size: 296
    .language:       OpenCL C
    .language_version:
      - 2
      - 0
    .max_flat_workgroup_size: 1024
    .name:           _Z11cool_kernelidPKdPdi
    .private_segment_fixed_size: 0
    .sgpr_count:     62
    .sgpr_spill_count: 0
    .symbol:         _Z11cool_kernelidPKdPdi.kd
    .uniform_work_group_size: 1
    .uses_dynamic_stack: false
    .vgpr_count:     81
    .vgpr_spill_count: 0
    .wavefront_size: 32
    .workgroup_processor_mode: 1
amdhsa.target:   amdgcn-amd-amdhsa--gfx1030
amdhsa.version:
  - 1
  - 2
...

	.end_amdgpu_metadata
